;; amdgpu-corpus repo=ROCm/composable_kernel kind=compiled arch=gfx950 opt=O3
	.amdgcn_target "amdgcn-amd-amdhsa--gfx950"
	.amdhsa_code_object_version 6
	.section	.text._ZN2ckL12flush_icacheEv,"axG",@progbits,_ZN2ckL12flush_icacheEv,comdat
	.globl	_ZN2ckL12flush_icacheEv         ; -- Begin function _ZN2ckL12flush_icacheEv
	.p2align	8
	.type	_ZN2ckL12flush_icacheEv,@function
_ZN2ckL12flush_icacheEv:                ; @_ZN2ckL12flush_icacheEv
; %bb.0:
	;;#ASMSTART
	s_icache_inv 
	s_nop 0 
	s_nop 0 
	;; [unrolled: 1-line block ×16, first 2 shown]
	
	;;#ASMEND
	s_endpgm
	.section	.rodata,"a",@progbits
	.p2align	6, 0x0
	.amdhsa_kernel _ZN2ckL12flush_icacheEv
		.amdhsa_group_segment_fixed_size 0
		.amdhsa_private_segment_fixed_size 0
		.amdhsa_kernarg_size 0
		.amdhsa_user_sgpr_count 0
		.amdhsa_user_sgpr_dispatch_ptr 0
		.amdhsa_user_sgpr_queue_ptr 0
		.amdhsa_user_sgpr_kernarg_segment_ptr 0
		.amdhsa_user_sgpr_dispatch_id 0
		.amdhsa_user_sgpr_kernarg_preload_length 0
		.amdhsa_user_sgpr_kernarg_preload_offset 0
		.amdhsa_user_sgpr_private_segment_size 0
		.amdhsa_uses_dynamic_stack 0
		.amdhsa_enable_private_segment 0
		.amdhsa_system_sgpr_workgroup_id_x 1
		.amdhsa_system_sgpr_workgroup_id_y 0
		.amdhsa_system_sgpr_workgroup_id_z 0
		.amdhsa_system_sgpr_workgroup_info 0
		.amdhsa_system_vgpr_workitem_id 0
		.amdhsa_next_free_vgpr 1
		.amdhsa_next_free_sgpr 0
		.amdhsa_accum_offset 4
		.amdhsa_reserve_vcc 0
		.amdhsa_float_round_mode_32 0
		.amdhsa_float_round_mode_16_64 0
		.amdhsa_float_denorm_mode_32 3
		.amdhsa_float_denorm_mode_16_64 3
		.amdhsa_dx10_clamp 1
		.amdhsa_ieee_mode 1
		.amdhsa_fp16_overflow 0
		.amdhsa_tg_split 0
		.amdhsa_exception_fp_ieee_invalid_op 0
		.amdhsa_exception_fp_denorm_src 0
		.amdhsa_exception_fp_ieee_div_zero 0
		.amdhsa_exception_fp_ieee_overflow 0
		.amdhsa_exception_fp_ieee_underflow 0
		.amdhsa_exception_fp_ieee_inexact 0
		.amdhsa_exception_int_div_zero 0
	.end_amdhsa_kernel
	.section	.text._ZN2ckL12flush_icacheEv,"axG",@progbits,_ZN2ckL12flush_icacheEv,comdat
.Lfunc_end0:
	.size	_ZN2ckL12flush_icacheEv, .Lfunc_end0-_ZN2ckL12flush_icacheEv
                                        ; -- End function
	.set _ZN2ckL12flush_icacheEv.num_vgpr, 0
	.set _ZN2ckL12flush_icacheEv.num_agpr, 0
	.set _ZN2ckL12flush_icacheEv.numbered_sgpr, 0
	.set _ZN2ckL12flush_icacheEv.num_named_barrier, 0
	.set _ZN2ckL12flush_icacheEv.private_seg_size, 0
	.set _ZN2ckL12flush_icacheEv.uses_vcc, 0
	.set _ZN2ckL12flush_icacheEv.uses_flat_scratch, 0
	.set _ZN2ckL12flush_icacheEv.has_dyn_sized_stack, 0
	.set _ZN2ckL12flush_icacheEv.has_recursion, 0
	.set _ZN2ckL12flush_icacheEv.has_indirect_call, 0
	.section	.AMDGPU.csdata,"",@progbits
; Kernel info:
; codeLenInByte = 276
; TotalNumSgprs: 6
; NumVgprs: 0
; NumAgprs: 0
; TotalNumVgprs: 0
; ScratchSize: 0
; MemoryBound: 0
; FloatMode: 240
; IeeeMode: 1
; LDSByteSize: 0 bytes/workgroup (compile time only)
; SGPRBlocks: 0
; VGPRBlocks: 0
; NumSGPRsForWavesPerEU: 6
; NumVGPRsForWavesPerEU: 1
; AccumOffset: 4
; Occupancy: 8
; WaveLimiterHint : 0
; COMPUTE_PGM_RSRC2:SCRATCH_EN: 0
; COMPUTE_PGM_RSRC2:USER_SGPR: 0
; COMPUTE_PGM_RSRC2:TRAP_HANDLER: 0
; COMPUTE_PGM_RSRC2:TGID_X_EN: 1
; COMPUTE_PGM_RSRC2:TGID_Y_EN: 0
; COMPUTE_PGM_RSRC2:TGID_Z_EN: 0
; COMPUTE_PGM_RSRC2:TIDIG_COMP_CNT: 0
; COMPUTE_PGM_RSRC3_GFX90A:ACCUM_OFFSET: 0
; COMPUTE_PGM_RSRC3_GFX90A:TG_SPLIT: 0
	.section	.text._ZN2ck27kernel_gemm_xdl_cshuffle_v2INS_28GridwiseGemm_xdl_cshuffle_v2INS_13tensor_layout4gemm8RowMajorES4_S4_DF16_DF16_fDF16_DF16_NS_16tensor_operation12element_wise11PassThroughES7_S7_LNS5_6device18GemmSpecializationE0ELNS_25InMemoryDataOperationEnumE0ELi2ELi256ELi256ELi256ELi32ELi8ELi4ELi16ELi16ELi8ELi8ENS_8SequenceIJLi4ELi64ELi1EEEENSB_IJLi1ELi0ELi2EEEESD_Li2ELi8ELi8ELb0ELi0ENSB_IJLi8ELi32ELi1EEEENSB_IJLi0ELi2ELi1EEEESF_Li1ELi8ELi4ELb0ELi0ELi1ELi1ENSB_IJLi1ELi32ELi1ELi8EEEELi4ELNS_13LoopSchedulerE0ELNS_15PipelineVersionE0EDF16_DF16_EELb1ELi3EEEvNT_8ArgumentE,"axG",@progbits,_ZN2ck27kernel_gemm_xdl_cshuffle_v2INS_28GridwiseGemm_xdl_cshuffle_v2INS_13tensor_layout4gemm8RowMajorES4_S4_DF16_DF16_fDF16_DF16_NS_16tensor_operation12element_wise11PassThroughES7_S7_LNS5_6device18GemmSpecializationE0ELNS_25InMemoryDataOperationEnumE0ELi2ELi256ELi256ELi256ELi32ELi8ELi4ELi16ELi16ELi8ELi8ENS_8SequenceIJLi4ELi64ELi1EEEENSB_IJLi1ELi0ELi2EEEESD_Li2ELi8ELi8ELb0ELi0ENSB_IJLi8ELi32ELi1EEEENSB_IJLi0ELi2ELi1EEEESF_Li1ELi8ELi4ELb0ELi0ELi1ELi1ENSB_IJLi1ELi32ELi1ELi8EEEELi4ELNS_13LoopSchedulerE0ELNS_15PipelineVersionE0EDF16_DF16_EELb1ELi3EEEvNT_8ArgumentE,comdat
	.protected	_ZN2ck27kernel_gemm_xdl_cshuffle_v2INS_28GridwiseGemm_xdl_cshuffle_v2INS_13tensor_layout4gemm8RowMajorES4_S4_DF16_DF16_fDF16_DF16_NS_16tensor_operation12element_wise11PassThroughES7_S7_LNS5_6device18GemmSpecializationE0ELNS_25InMemoryDataOperationEnumE0ELi2ELi256ELi256ELi256ELi32ELi8ELi4ELi16ELi16ELi8ELi8ENS_8SequenceIJLi4ELi64ELi1EEEENSB_IJLi1ELi0ELi2EEEESD_Li2ELi8ELi8ELb0ELi0ENSB_IJLi8ELi32ELi1EEEENSB_IJLi0ELi2ELi1EEEESF_Li1ELi8ELi4ELb0ELi0ELi1ELi1ENSB_IJLi1ELi32ELi1ELi8EEEELi4ELNS_13LoopSchedulerE0ELNS_15PipelineVersionE0EDF16_DF16_EELb1ELi3EEEvNT_8ArgumentE ; -- Begin function _ZN2ck27kernel_gemm_xdl_cshuffle_v2INS_28GridwiseGemm_xdl_cshuffle_v2INS_13tensor_layout4gemm8RowMajorES4_S4_DF16_DF16_fDF16_DF16_NS_16tensor_operation12element_wise11PassThroughES7_S7_LNS5_6device18GemmSpecializationE0ELNS_25InMemoryDataOperationEnumE0ELi2ELi256ELi256ELi256ELi32ELi8ELi4ELi16ELi16ELi8ELi8ENS_8SequenceIJLi4ELi64ELi1EEEENSB_IJLi1ELi0ELi2EEEESD_Li2ELi8ELi8ELb0ELi0ENSB_IJLi8ELi32ELi1EEEENSB_IJLi0ELi2ELi1EEEESF_Li1ELi8ELi4ELb0ELi0ELi1ELi1ENSB_IJLi1ELi32ELi1ELi8EEEELi4ELNS_13LoopSchedulerE0ELNS_15PipelineVersionE0EDF16_DF16_EELb1ELi3EEEvNT_8ArgumentE
	.globl	_ZN2ck27kernel_gemm_xdl_cshuffle_v2INS_28GridwiseGemm_xdl_cshuffle_v2INS_13tensor_layout4gemm8RowMajorES4_S4_DF16_DF16_fDF16_DF16_NS_16tensor_operation12element_wise11PassThroughES7_S7_LNS5_6device18GemmSpecializationE0ELNS_25InMemoryDataOperationEnumE0ELi2ELi256ELi256ELi256ELi32ELi8ELi4ELi16ELi16ELi8ELi8ENS_8SequenceIJLi4ELi64ELi1EEEENSB_IJLi1ELi0ELi2EEEESD_Li2ELi8ELi8ELb0ELi0ENSB_IJLi8ELi32ELi1EEEENSB_IJLi0ELi2ELi1EEEESF_Li1ELi8ELi4ELb0ELi0ELi1ELi1ENSB_IJLi1ELi32ELi1ELi8EEEELi4ELNS_13LoopSchedulerE0ELNS_15PipelineVersionE0EDF16_DF16_EELb1ELi3EEEvNT_8ArgumentE
	.p2align	8
	.type	_ZN2ck27kernel_gemm_xdl_cshuffle_v2INS_28GridwiseGemm_xdl_cshuffle_v2INS_13tensor_layout4gemm8RowMajorES4_S4_DF16_DF16_fDF16_DF16_NS_16tensor_operation12element_wise11PassThroughES7_S7_LNS5_6device18GemmSpecializationE0ELNS_25InMemoryDataOperationEnumE0ELi2ELi256ELi256ELi256ELi32ELi8ELi4ELi16ELi16ELi8ELi8ENS_8SequenceIJLi4ELi64ELi1EEEENSB_IJLi1ELi0ELi2EEEESD_Li2ELi8ELi8ELb0ELi0ENSB_IJLi8ELi32ELi1EEEENSB_IJLi0ELi2ELi1EEEESF_Li1ELi8ELi4ELb0ELi0ELi1ELi1ENSB_IJLi1ELi32ELi1ELi8EEEELi4ELNS_13LoopSchedulerE0ELNS_15PipelineVersionE0EDF16_DF16_EELb1ELi3EEEvNT_8ArgumentE,@function
_ZN2ck27kernel_gemm_xdl_cshuffle_v2INS_28GridwiseGemm_xdl_cshuffle_v2INS_13tensor_layout4gemm8RowMajorES4_S4_DF16_DF16_fDF16_DF16_NS_16tensor_operation12element_wise11PassThroughES7_S7_LNS5_6device18GemmSpecializationE0ELNS_25InMemoryDataOperationEnumE0ELi2ELi256ELi256ELi256ELi32ELi8ELi4ELi16ELi16ELi8ELi8ENS_8SequenceIJLi4ELi64ELi1EEEENSB_IJLi1ELi0ELi2EEEESD_Li2ELi8ELi8ELb0ELi0ENSB_IJLi8ELi32ELi1EEEENSB_IJLi0ELi2ELi1EEEESF_Li1ELi8ELi4ELb0ELi0ELi1ELi1ENSB_IJLi1ELi32ELi1ELi8EEEELi4ELNS_13LoopSchedulerE0ELNS_15PipelineVersionE0EDF16_DF16_EELb1ELi3EEEvNT_8ArgumentE: ; @_ZN2ck27kernel_gemm_xdl_cshuffle_v2INS_28GridwiseGemm_xdl_cshuffle_v2INS_13tensor_layout4gemm8RowMajorES4_S4_DF16_DF16_fDF16_DF16_NS_16tensor_operation12element_wise11PassThroughES7_S7_LNS5_6device18GemmSpecializationE0ELNS_25InMemoryDataOperationEnumE0ELi2ELi256ELi256ELi256ELi32ELi8ELi4ELi16ELi16ELi8ELi8ENS_8SequenceIJLi4ELi64ELi1EEEENSB_IJLi1ELi0ELi2EEEESD_Li2ELi8ELi8ELb0ELi0ENSB_IJLi8ELi32ELi1EEEENSB_IJLi0ELi2ELi1EEEESF_Li1ELi8ELi4ELb0ELi0ELi1ELi1ENSB_IJLi1ELi32ELi1ELi8EEEELi4ELNS_13LoopSchedulerE0ELNS_15PipelineVersionE0EDF16_DF16_EELb1ELi3EEEvNT_8ArgumentE
; %bb.0:
	s_load_dwordx4 s[8:11], s[0:1], 0x10
	s_load_dwordx2 s[28:29], s[0:1], 0x20
	s_load_dword s12, s[0:1], 0x34
	s_load_dwordx4 s[20:23], s[0:1], 0x48
	s_load_dwordx2 s[4:5], s[0:1], 0x58
	s_waitcnt lgkmcnt(0)
	s_add_i32 s3, s8, -1
	s_cmpk_lt_u32 s3, 0x100
	s_mov_b32 s6, 0
	s_cbranch_scc1 .LBB1_4
; %bb.1:
	s_add_i32 s0, s9, -1
	s_cmpk_lt_u32 s0, 0x100
	s_mov_b32 s1, 0
	s_cbranch_scc1 .LBB1_8
; %bb.2:
	s_add_i32 s0, s8, 0xff
	s_ashr_i32 s1, s0, 31
	s_lshr_b32 s1, s1, 24
	s_add_i32 s0, s0, s1
	s_ashr_i32 s8, s0, 8
	s_add_i32 s0, s9, 0xff
	s_ashr_i32 s1, s0, 31
	s_lshr_b32 s1, s1, 24
	s_add_i32 s0, s0, s1
	s_ashr_i32 s7, s0, 8
	s_mul_i32 s0, s7, s8
	s_add_i32 s1, s0, 7
	s_ashr_i32 s13, s1, 31
	s_lshr_b32 s13, s13, 29
	s_add_i32 s1, s1, s13
	s_ashr_i32 s13, s1, 3
	s_and_b32 s1, s1, -8
	s_sub_i32 s14, s0, s1
	s_ashr_i32 s0, s2, 31
	s_lshr_b32 s0, s0, 29
	s_add_i32 s16, s2, s0
	s_and_b32 s0, s16, -8
	s_add_i32 s14, s14, 8
	s_sub_i32 s15, s2, s0
	s_cmp_gt_i32 s15, s14
	s_cbranch_scc1 .LBB1_5
; %bb.3:
	s_mul_i32 s2, s13, s15
	s_ashr_i32 s0, s16, 3
	s_cbranch_execz .LBB1_6
	s_branch .LBB1_7
.LBB1_4:
	s_mov_b32 s0, 0
	s_branch .LBB1_9
.LBB1_5:
                                        ; implicit-def: $sgpr2
	s_ashr_i32 s0, s16, 3
.LBB1_6:
	s_add_i32 s1, s13, -1
	s_mul_i32 s1, s1, s15
	s_add_i32 s2, s14, s1
.LBB1_7:
	s_abs_i32 s1, s7
	v_cvt_f32_u32_e32 v1, s1
	s_sub_i32 s14, 0, s1
	s_add_i32 s0, s2, s0
	s_abs_i32 s13, s0
	v_rcp_iflag_f32_e32 v1, v1
	s_xor_b32 s2, s0, s7
	s_ashr_i32 s2, s2, 31
	v_mul_f32_e32 v1, 0x4f7ffffe, v1
	v_cvt_u32_f32_e32 v1, v1
	s_nop 0
	v_readfirstlane_b32 s15, v1
	s_mul_i32 s14, s14, s15
	s_mul_hi_u32 s14, s15, s14
	s_add_i32 s15, s15, s14
	s_mul_hi_u32 s14, s13, s15
	s_mul_i32 s15, s14, s1
	s_sub_i32 s13, s13, s15
	s_add_i32 s16, s14, 1
	s_sub_i32 s15, s13, s1
	s_cmp_ge_u32 s13, s1
	s_cselect_b32 s14, s16, s14
	s_cselect_b32 s13, s15, s13
	s_add_i32 s15, s14, 1
	s_cmp_ge_u32 s13, s1
	s_cselect_b32 s1, s15, s14
	s_xor_b32 s1, s1, s2
	s_lshr_b32 s13, s8, 30
	s_sub_i32 s2, s1, s2
	s_add_i32 s13, s8, s13
	s_mul_i32 s1, s2, s7
	s_sub_i32 s0, s0, s1
	s_and_b32 s1, s13, -4
	s_sub_i32 s8, s8, s1
	s_cmp_ge_i32 s2, s1
	s_cselect_b32 s8, s8, 4
	s_abs_i32 s13, s8
	v_cvt_f32_u32_e32 v1, s13
	s_ashr_i32 s1, s2, 31
	s_lshr_b32 s1, s1, 30
	s_add_i32 s1, s2, s1
	v_rcp_iflag_f32_e32 v1, v1
	s_and_b32 s1, s1, -4
	s_sub_i32 s14, s2, s1
	s_sub_i32 s15, 0, s13
	v_mul_f32_e32 v1, 0x4f7ffffe, v1
	v_cvt_u32_f32_e32 v1, v1
	s_mul_i32 s1, s14, s7
	s_add_i32 s0, s1, s0
	s_abs_i32 s7, s0
	v_readfirstlane_b32 s16, v1
	s_mul_i32 s15, s15, s16
	s_mul_hi_u32 s15, s16, s15
	s_add_i32 s16, s16, s15
	s_mul_hi_u32 s15, s7, s16
	s_mul_i32 s16, s15, s13
	s_xor_b32 s1, s0, s8
	s_sub_i32 s7, s7, s16
	s_ashr_i32 s1, s1, 31
	s_add_i32 s16, s15, 1
	s_sub_i32 s17, s7, s13
	s_cmp_ge_u32 s7, s13
	s_cselect_b32 s15, s16, s15
	s_cselect_b32 s7, s17, s7
	s_add_i32 s16, s15, 1
	s_cmp_ge_u32 s7, s13
	s_cselect_b32 s7, s16, s15
	s_xor_b32 s7, s7, s1
	s_sub_i32 s1, s7, s1
	s_mul_i32 s7, s1, s8
	s_sub_i32 s0, s0, s7
	s_add_i32 s0, s0, s2
	s_sub_i32 s2, s0, s14
.LBB1_8:
	s_mov_b32 s0, s2
	s_mov_b32 s2, s1
.LBB1_9:
	v_lshrrev_b32_e32 v35, 5, v0
	v_lshlrev_b32_e32 v3, 3, v0
	s_add_i32 s13, s10, 0x7fffffff
	v_and_b32_e32 v36, 0xf8, v3
	v_mul_lo_u32 v3, v35, s28
	s_mul_i32 s16, s13, s28
	s_lshl_b32 s13, s2, 8
	v_lshlrev_b32_e32 v3, 2, v3
	v_and_b32_e32 v1, 0xfc, v0
	v_add3_u32 v3, v3, v36, s13
	s_ashr_i32 s13, s12, 31
	v_lshl_or_b32 v2, s0, 8, v1
	v_and_b32_e32 v7, 15, v0
	v_lshlrev_b32_e32 v4, 7, v0
	s_lshr_b32 s13, s13, 30
	v_and_b32_e32 v34, 3, v0
	v_mul_lo_u32 v2, v2, s11
	v_and_b32_e32 v4, 0x1800, v4
	v_lshlrev_b32_e32 v5, 3, v7
	v_and_b32_e32 v6, 0x80, v0
	s_add_i32 s12, s12, s13
	s_mov_b32 s1, s11
	s_mov_b32 s7, s28
	s_mul_i32 s8, s3, s11
	v_lshl_add_u32 v2, v34, 3, v2
	v_or3_b32 v37, v5, v6, v4
	v_lshlrev_b32_e32 v5, 2, v7
	v_and_b32_e32 v6, 64, v0
	s_ashr_i32 s30, s12, 2
	scratch_store_dword off, v7, off offset:136 ; 4-byte Folded Spill
	scratch_store_dword off, v0, off offset:132 ; 4-byte Folded Spill
	v_or3_b32 v38, v5, v6, v4
	; sched_barrier mask(0x00000000)
	v_add_u32_e32 v12, s11, v2
	s_add_i32 s8, s10, s8
	v_add_u32_e32 v11, s28, v3
	v_add_u32_e32 v19, s11, v12
	s_lshl_b32 s14, s8, 1
	s_mov_b32 s15, 0x20000
	s_add_i32 s8, s9, s16
	v_add_u32_e32 v40, s11, v19
	s_and_b32 s13, s21, 0xffff
	s_mov_b32 s12, s20
	v_lshlrev_b32_e32 v10, 1, v2
	s_lshl_b32 s26, s8, 1
	s_and_b32 s25, s23, 0xffff
	s_mov_b32 s24, s22
	s_mov_b32 s27, s15
	v_lshlrev_b32_e32 v18, 1, v3
	v_lshlrev_b32_e32 v20, 1, v11
	v_add_u32_e32 v26, s28, v11
	v_lshlrev_b32_e32 v27, 1, v19
	v_lshlrev_b32_e32 v28, 1, v40
	v_add_u32_e32 v39, s28, v26
	v_lshlrev_b32_e32 v41, 1, v26
	v_lshlrev_b32_e32 v13, 1, v12
	buffer_load_dwordx4 v[2:5], v10, s[12:15], 0 offen
	buffer_load_dwordx4 v[6:9], v13, s[12:15], 0 offen
	s_nop 0
	buffer_load_dwordx4 v[10:13], v18, s[24:27], 0 offen
	buffer_load_dwordx4 v[14:17], v20, s[24:27], 0 offen
	s_nop 0
	buffer_load_dwordx4 v[18:21], v27, s[12:15], 0 offen
	buffer_load_dwordx4 v[22:25], v28, s[12:15], 0 offen
	v_lshlrev_b32_e32 v42, 1, v39
	buffer_load_dwordx4 v[26:29], v41, s[24:27], 0 offen
	buffer_load_dwordx4 v[30:33], v42, s[24:27], 0 offen
	s_mul_i32 s16, s11, -3
	s_mul_i32 s8, s28, 29
	v_lshlrev_b32_e32 v1, 4, v1
	s_add_i32 s23, s16, 32
	v_lshlrev_b32_e32 v35, 11, v35
	v_lshl_or_b32 v151, v34, 12, v1
	v_lshl_or_b32 v150, v36, 3, v35
	s_mov_b32 s10, 0x5040100
	v_add_u32_e32 v1, s8, v39
	v_add_u32_e32 v36, s28, v1
	s_mov_b32 s21, 0x7060302
	v_add_u32_e32 v34, s23, v40
	v_lshlrev_b32_e32 v35, 1, v34
	v_add_u32_e32 v34, s11, v34
	v_lshlrev_b32_e32 v39, 1, v34
	;; [unrolled: 2-line block ×3, first 2 shown]
	v_lshlrev_b32_e32 v41, 1, v34
	v_add_u32_e32 v34, s11, v34
	v_lshlrev_b32_e32 v43, 1, v34
	v_add_u32_e32 v40, s28, v36
	v_add_u32_e32 v42, s28, v40
	v_lshlrev_b32_e32 v44, 1, v42
	v_lshlrev_b32_e32 v0, 1, v37
	s_add_i32 s30, s30, -3
	v_lshlrev_b32_e32 v40, 1, v40
	s_mov_b32 s17, s25
	v_lshlrev_b32_e32 v36, 1, v36
	s_mov_b32 s19, s15
	v_or_b32_e32 v154, 0x8000, v0
	s_mov_b32 s18, s26
	v_accvgpr_write_b32 a88, v0
	v_accvgpr_write_b32 a255, 0
	;; [unrolled: 1-line block ×23, first 2 shown]
	s_waitcnt vmcnt(7)
	ds_write_b128 v151, v[2:5]
	s_waitcnt vmcnt(6)
	ds_write_b128 v151, v[6:9] offset:16
	s_waitcnt vmcnt(4)
	v_perm_b32 v2, v14, v10, s10
	v_perm_b32 v4, v14, v10, s21
	;; [unrolled: 1-line block ×3, first 2 shown]
	s_waitcnt vmcnt(0)
	v_perm_b32 v3, v30, v26, s10
	v_perm_b32 v5, v30, v26, s21
	;; [unrolled: 1-line block ×7, first 2 shown]
	ds_write_b128 v151, v[18:21] offset:32
	ds_write_b128 v151, v[22:25] offset:48
	v_perm_b32 v7, v31, v27, s10
	v_perm_b32 v9, v31, v27, s21
	;; [unrolled: 1-line block ×6, first 2 shown]
	ds_write_b128 v150, v[2:5] offset:16384
	ds_write_b128 v150, v[6:9] offset:16400
	ds_write_b128 v150, v[10:13] offset:16416
	ds_write_b128 v150, v[14:17] offset:16432
	s_waitcnt lgkmcnt(0)
	s_barrier
	buffer_load_dwordx4 v[18:21], v35, s[12:15], 0 offen
	buffer_load_dwordx4 v[22:25], v39, s[12:15], 0 offen
	;; [unrolled: 1-line block ×8, first 2 shown]
	v_or_b32_e32 v1, 0x8000, v151
	scratch_store_dword off, v1, off offset:112 ; 4-byte Folded Spill
	v_or_b32_e32 v1, 0x8000, v150
	scratch_store_dword off, v1, off offset:116 ; 4-byte Folded Spill
	v_add_u32_e32 v1, s8, v42
	v_add_u32_e32 v2, s23, v34
	v_lshlrev_b32_e32 v3, 1, v2
	v_add_u32_e32 v4, s28, v1
	v_add_u32_e32 v2, s11, v2
	v_lshlrev_b32_e32 v27, 1, v38
	v_lshlrev_b32_e32 v6, 1, v2
	v_add_u32_e32 v7, s28, v4
	v_add_u32_e32 v2, s11, v2
	;; [unrolled: 1-line block ×3, first 2 shown]
	v_lshlrev_b32_e32 v5, 1, v1
	v_add_u32_e32 v1, s28, v7
	v_add_u32_e32 v70, s11, v2
	;; [unrolled: 1-line block ×3, first 2 shown]
	v_lshlrev_b32_e32 v8, 1, v4
	v_lshlrev_b32_e32 v4, 1, v2
	;; [unrolled: 1-line block ×5, first 2 shown]
	ds_read2_b64 v[126:129], v9 offset1:32
	ds_read2_b64 v[42:45], v11 offset1:32
	ds_read2_b64 v[130:133], v9 offset0:64 offset1:96
	ds_read2_b64 v[66:69], v11 offset0:64 offset1:96
	;; [unrolled: 1-line block ×4, first 2 shown]
	scratch_store_dword off, v9, off offset:120 ; 4-byte Folded Spill
	ds_read2_b64 v[138:141], v9 offset0:192 offset1:224
	v_accvgpr_write_b32 a89, v11
	ds_read2_b64 v[102:105], v11 offset0:192 offset1:224
	ds_read_b128 v[86:89], v0
	ds_read_b128 v[50:53], v0 offset:512
	ds_read_b128 v[30:33], v0 offset:1024
	;; [unrolled: 1-line block ×7, first 2 shown]
	buffer_load_dwordx4 v[94:97], v3, s[12:15], 0 offen
	buffer_load_dwordx4 v[90:93], v6, s[12:15], 0 offen
                                        ; kill: killed $vgpr3
                                        ; kill: killed $vgpr6
	buffer_load_dwordx4 v[34:37], v4, s[12:15], 0 offen
	buffer_load_dwordx4 v[206:209], v2, s[12:15], 0 offen
	s_nop 0
	buffer_load_dwordx4 v[2:5], v5, s[24:27], 0 offen
	s_nop 0
	;; [unrolled: 2-line block ×4, first 2 shown]
	buffer_load_dwordx4 v[14:17], v14, s[24:27], 0 offen
	v_accvgpr_write_b32 a115, 0
	v_accvgpr_write_b32 a114, 0
	;; [unrolled: 1-line block ×6, first 2 shown]
	s_waitcnt vmcnt(18)
	ds_write_b128 v151, v[18:21] offset:32768
	s_waitcnt vmcnt(17)
	ds_write_b128 v151, v[22:25] offset:32784
	;; [unrolled: 2-line block ×4, first 2 shown]
	v_accvgpr_write_b32 a141, 0
	s_waitcnt vmcnt(13)
	v_perm_b32 v18, v114, v110, s10
	v_perm_b32 v20, v114, v110, s21
	s_waitcnt vmcnt(11)
	v_perm_b32 v19, v122, v118, s10
	v_perm_b32 v21, v122, v118, s21
	;; [unrolled: 1-line block ×14, first 2 shown]
	ds_write_b128 v150, v[18:21] offset:49152
	ds_write_b128 v150, v[22:25] offset:49168
	;; [unrolled: 1-line block ×4, first 2 shown]
	v_or_b32_e32 v18, 0x8000, v27
	v_mov_b32_e32 v23, 0
	v_mov_b32_e32 v22, 0
	;; [unrolled: 1-line block ×4, first 2 shown]
	v_add_u32_e32 v19, 0x4000, v18
	v_accvgpr_write_b32 a140, 0
	v_accvgpr_write_b32 a139, 0
	;; [unrolled: 1-line block ×11, first 2 shown]
	v_mov_b32_e32 v163, 0
	v_mov_b32_e32 v162, 0
	;; [unrolled: 1-line block ×44, first 2 shown]
	v_accvgpr_write_b32 a239, 0
	v_accvgpr_write_b32 a238, 0
	;; [unrolled: 1-line block ×52, first 2 shown]
	v_mov_b32_e32 v225, 0
	v_mov_b32_e32 v224, 0
	;; [unrolled: 1-line block ×4, first 2 shown]
	v_accvgpr_write_b32 a219, 0
	v_accvgpr_write_b32 a218, 0
	;; [unrolled: 1-line block ×104, first 2 shown]
	scratch_store_dwordx4 off, v[20:23], off ; 16-byte Folded Spill
	v_accvgpr_write_b32 a55, 0
	v_accvgpr_write_b32 a54, 0
	;; [unrolled: 1-line block ×8, first 2 shown]
	s_mov_b32 s16, s22
	scratch_store_dword off, v19, off offset:124 ; 4-byte Folded Spill
	scratch_store_dword off, v18, off offset:140 ; 4-byte Folded Spill
	v_add_u32_e32 v18, 0x4800, v18
	s_waitcnt lgkmcnt(14)
	v_mov_b32_e32 v106, v126
	v_mov_b32_e32 v107, v127
	;; [unrolled: 1-line block ×24, first 2 shown]
	scratch_store_dword off, v18, off offset:128 ; 4-byte Folded Spill
.LBB1_10:                               ; =>This Inner Loop Header: Depth=1
	v_add_u32_e32 v126, s23, v70
	v_accvgpr_read_b32 v149, a141
	v_accvgpr_read_b32 v148, a140
	v_accvgpr_read_b32 v147, a139
	v_accvgpr_read_b32 v146, a138
	v_accvgpr_mov_b32 a141, a7
	v_accvgpr_mov_b32 a140, a6
	;; [unrolled: 1-line block ×4, first 2 shown]
	v_lshlrev_b32_e32 v26, 1, v126
	s_waitcnt lgkmcnt(0)
	v_mfma_f32_16x16x32_f16 a[224:227], v[86:89], v[106:109], a[138:141]
	s_barrier
	ds_read_b128 v[22:25], v154
	v_accvgpr_read_b32 v210, a122
	v_mfma_f32_16x16x32_f16 a[4:7], v[86:89], v[42:45], a[134:137]
	s_waitcnt vmcnt(11)
	ds_write_b128 v151, v[94:97]
	v_accvgpr_read_b32 v76, a94
	v_accvgpr_read_b32 v129, a97
	v_mfma_f32_16x16x32_f16 a[28:31], v[86:89], v[110:113], a[28:31]
	buffer_load_dwordx4 v[26:29], v26, s[12:15], 0 offen
	v_accvgpr_read_b32 v128, a96
	v_accvgpr_read_b32 v213, a125
	;; [unrolled: 1-line block ×3, first 2 shown]
	scratch_store_dwordx4 off, a[4:7], off offset:32 ; 16-byte Folded Spill
	v_accvgpr_read_b32 v211, a123
	v_accvgpr_read_b32 v77, a95
	v_mfma_f32_16x16x32_f16 a[4:7], v[86:89], v[66:69], a[130:133]
	v_accvgpr_write_b32 a94, v210
	v_accvgpr_write_b32 a95, v211
	;; [unrolled: 1-line block ×4, first 2 shown]
	v_mfma_f32_16x16x32_f16 a[146:149], v[86:89], v[114:117], a[146:149]
	v_accvgpr_read_b32 v135, a111
	v_add_u32_e32 v78, s1, v126
	v_accvgpr_read_b32 v137, a113
	scratch_store_dwordx4 off, a[4:7], off offset:48 ; 16-byte Folded Spill
	v_mfma_f32_16x16x32_f16 a[126:129], v[86:89], v[98:101], a[126:129]
	v_accvgpr_read_b32 v136, a112
	v_accvgpr_read_b32 v134, a110
	v_accvgpr_mov_b32 a113, a105
	v_mfma_f32_16x16x32_f16 a[4:7], v[86:89], v[118:121], a[94:97]
	v_accvgpr_mov_b32 a112, a104
	v_accvgpr_mov_b32 a111, a103
	;; [unrolled: 1-line block ×3, first 2 shown]
	v_mfma_f32_16x16x32_f16 a[20:23], v[86:89], v[102:105], a[20:23]
	v_accvgpr_read_b32 v245, a71
	v_accvgpr_read_b32 v244, a70
	v_accvgpr_read_b32 v243, a69
	v_accvgpr_read_b32 v242, a68
	scratch_store_dwordx4 off, a[4:7], off offset:64 ; 16-byte Folded Spill
	v_accvgpr_read_b32 v229, a75
	v_accvgpr_read_b32 v228, a74
	v_mfma_f32_16x16x32_f16 a[4:7], v[50:53], v[106:109], a[176:179]
	s_waitcnt vmcnt(13)
	ds_write_b128 v151, v[34:37] offset:32
	v_lshlrev_b32_e32 v34, 1, v78
	v_accvgpr_read_b32 v227, a73
	v_accvgpr_read_b32 v226, a72
	v_mfma_f32_16x16x32_f16 a[72:75], v[50:53], v[118:121], a[110:113]
	v_accvgpr_read_b32 v75, a1
	v_accvgpr_read_b32 v153, a3
	;; [unrolled: 1-line block ×3, first 2 shown]
	v_mfma_f32_16x16x32_f16 a[68:71], v[50:53], v[102:105], a[192:195]
	v_accvgpr_read_b32 v74, a0
	v_accvgpr_mov_b32 a3, a59
	v_accvgpr_mov_b32 a2, a58
	;; [unrolled: 1-line block ×4, first 2 shown]
	v_accvgpr_read_b32 v246, a32
	v_accvgpr_read_b32 v249, a35
	;; [unrolled: 1-line block ×4, first 2 shown]
	scratch_store_dwordx4 off, a[4:7], off offset:96 ; 16-byte Folded Spill
	v_accvgpr_read_b32 v234, a80
	v_accvgpr_read_b32 v237, a83
	v_accvgpr_write_b32 a4, v246
	v_accvgpr_write_b32 a5, v247
	;; [unrolled: 1-line block ×4, first 2 shown]
	v_accvgpr_read_b32 v236, a82
	v_accvgpr_read_b32 v235, a81
	v_add_u32_e32 v86, s1, v78
	v_lshlrev_b32_e32 v38, 1, v86
	v_accvgpr_mov_b32 a167, a171
	v_accvgpr_mov_b32 a166, a170
	;; [unrolled: 1-line block ×8, first 2 shown]
	v_accvgpr_write_b32 a172, v222
	v_accvgpr_write_b32 a173, v223
	;; [unrolled: 1-line block ×4, first 2 shown]
	v_accvgpr_read_b32 v222, a98
	v_accvgpr_read_b32 v225, a101
	;; [unrolled: 1-line block ×5, first 2 shown]
	s_waitcnt vmcnt(4)
	scratch_store_dwordx4 off, v[26:29], off offset:16 ; 16-byte Folded Spill
	buffer_load_dwordx4 v[26:29], v34, s[12:15], 0 offen
	v_mfma_f32_16x16x32_f16 a[0:3], v[30:33], v[102:105], a[0:3]
	v_accvgpr_read_b32 v221, a79
	v_accvgpr_read_b32 v220, a78
	;; [unrolled: 1-line block ×12, first 2 shown]
	v_accvgpr_write_b32 a0, v242
	v_accvgpr_write_b32 a1, v243
	;; [unrolled: 1-line block ×4, first 2 shown]
	v_accvgpr_read_b32 v217, a11
	v_accvgpr_read_b32 v216, a10
	v_mfma_f32_16x16x32_f16 a[0:3], v[46:49], v[106:109], a[0:3]
	v_accvgpr_read_b32 v215, a9
	v_accvgpr_mov_b32 a131, a13
	v_accvgpr_mov_b32 a130, a12
	;; [unrolled: 1-line block ×7, first 2 shown]
	v_accvgpr_read_b32 v255, a3
	v_accvgpr_read_b32 v254, a2
	;; [unrolled: 1-line block ×4, first 2 shown]
	v_accvgpr_write_b32 a0, v226
	v_accvgpr_write_b32 a1, v227
	;; [unrolled: 1-line block ×4, first 2 shown]
	v_accvgpr_mov_b32 a111, a17
	v_accvgpr_mov_b32 a16, a220
	v_mfma_f32_16x16x32_f16 a[0:3], v[46:49], v[66:69], a[0:3]
	v_accvgpr_mov_b32 a19, a223
	v_accvgpr_mov_b32 a18, a222
	;; [unrolled: 1-line block ×3, first 2 shown]
	v_mov_b32_e32 v0, v154
	v_mov_b64_e32 v[158:159], v[160:161]
	v_accvgpr_write_b32 a142, v206
	v_add_u32_e32 v1, s8, v1
	v_accvgpr_write_b32 a143, v207
	v_accvgpr_read_b32 v231, a3
	v_accvgpr_read_b32 v230, a2
	;; [unrolled: 1-line block ×4, first 2 shown]
	v_accvgpr_write_b32 a0, v234
	v_accvgpr_write_b32 a1, v235
	;; [unrolled: 1-line block ×6, first 2 shown]
	v_accvgpr_mov_b32 a125, a207
	v_accvgpr_mov_b32 a124, a206
	;; [unrolled: 1-line block ×4, first 2 shown]
	v_accvgpr_read_b32 v139, a115
	v_accvgpr_write_b32 a8, v158
	v_lshlrev_b32_e32 v18, 1, v1
	v_accvgpr_read_b32 v141, a117
	v_accvgpr_read_b32 v140, a116
	;; [unrolled: 1-line block ×3, first 2 shown]
	v_accvgpr_mov_b32 a117, a51
	v_accvgpr_mov_b32 a116, a50
	v_accvgpr_mov_b32 a115, a49
	v_accvgpr_mov_b32 a114, a48
	v_accvgpr_write_b32 a9, v159
	v_accvgpr_read_b32 v206, a240
	v_accvgpr_read_b32 v131, a107
	;; [unrolled: 1-line block ×7, first 2 shown]
	s_waitcnt vmcnt(0)
	scratch_store_dwordx4 off, v[26:29], off offset:80 ; 16-byte Folded Spill
	buffer_load_dwordx4 v[26:29], v38, s[12:15], 0 offen
	v_mfma_f32_16x16x32_f16 a[0:3], v[46:49], v[114:117], a[0:3]
	v_accvgpr_read_b32 v130, a106
	v_accvgpr_mov_b32 a109, a47
	v_accvgpr_mov_b32 a108, a46
	;; [unrolled: 1-line block ×4, first 2 shown]
	v_perm_b32 v88, v8, v4, s21
	v_perm_b32 v87, v16, v12, s10
	;; [unrolled: 1-line block ×3, first 2 shown]
	v_accvgpr_read_b32 v235, a3
	v_accvgpr_read_b32 v234, a2
	v_accvgpr_read_b32 v233, a1
	v_accvgpr_read_b32 v232, a0
	v_accvgpr_write_b32 a0, v222
	v_accvgpr_write_b32 a1, v223
	;; [unrolled: 1-line block ×4, first 2 shown]
	v_add_u32_e32 v1, s7, v1
	v_mov_b64_e32 v[160:161], v[162:163]
	v_mfma_f32_16x16x32_f16 a[0:3], v[46:49], v[98:101], a[0:3]
	v_mov_b64_e32 v[162:163], v[164:165]
	v_mov_b64_e32 v[164:165], v[166:167]
	;; [unrolled: 1-line block ×4, first 2 shown]
	v_accvgpr_read_b32 v155, a65
	v_accvgpr_read_b32 v159, a9
	;; [unrolled: 1-line block ×8, first 2 shown]
	v_accvgpr_write_b32 a0, v218
	v_accvgpr_write_b32 a1, v219
	;; [unrolled: 1-line block ×4, first 2 shown]
	v_accvgpr_read_b32 v156, a66
	v_mov_b32_e32 v16, v151
	v_mfma_f32_16x16x32_f16 a[248:251], v[46:49], v[118:121], a[0:3]
	v_accvgpr_read_b32 v143, a119
	v_accvgpr_read_b32 v142, a118
	v_accvgpr_read_b32 v145, a121
	v_accvgpr_write_b32 a0, v214
	v_accvgpr_write_b32 a1, v215
	;; [unrolled: 1-line block ×4, first 2 shown]
	v_accvgpr_read_b32 v144, a120
	v_mov_b32_e32 v126, v76
	v_mfma_f32_16x16x32_f16 a[196:199], v[46:49], v[102:105], a[0:3]
	; sched_group_barrier mask(0x00000008) size(1) SyncID(0)
	; sched_group_barrier mask(0x00000100) size(1) SyncID(0)
	;; [unrolled: 1-line block ×8, first 2 shown]
	v_mfma_f32_16x16x32_f16 a[158:161], v[62:65], v[42:45], a[156:159]
	scratch_load_dwordx4 a[10:13], off, off ; 16-byte Folded Reload
	s_nop 0
	v_accvgpr_mov_b32 a0, a130
	v_accvgpr_mov_b32 a1, a131
	;; [unrolled: 1-line block ×4, first 2 shown]
	v_mfma_f32_16x16x32_f16 a[252:255], v[82:85], v[102:105], a[252:255]
	s_waitcnt vmcnt(0)
	v_accvgpr_read_b32 v227, a13
	v_accvgpr_read_b32 v226, a12
	v_mfma_f32_16x16x32_f16 a[12:15], v[62:65], v[106:109], a[0:3]
	v_accvgpr_read_b32 v224, a10
	v_accvgpr_read_b32 v225, a11
	s_nop 0
	v_accvgpr_mov_b32 a0, a90
	v_accvgpr_mov_b32 a1, a91
	;; [unrolled: 1-line block ×4, first 2 shown]
	s_nop 1
	v_mfma_f32_16x16x32_f16 a[150:153], v[62:65], v[110:113], a[0:3]
	s_nop 2
	v_accvgpr_mov_b32 a0, a110
	v_accvgpr_mov_b32 a1, a111
	v_accvgpr_mov_b32 a2, a112
	v_accvgpr_mov_b32 a3, a113
	s_nop 1
	v_mfma_f32_16x16x32_f16 a[0:3], v[62:65], v[66:69], a[0:3]
	s_nop 7
	v_accvgpr_read_b32 v37, a3
	v_accvgpr_read_b32 v36, a2
	;; [unrolled: 1-line block ×4, first 2 shown]
	v_accvgpr_mov_b32 a0, a16
	v_accvgpr_mov_b32 a1, a17
	;; [unrolled: 1-line block ×4, first 2 shown]
	s_nop 1
	v_mfma_f32_16x16x32_f16 a[90:93], v[62:65], v[114:117], a[0:3]
	s_nop 2
	v_accvgpr_write_b32 a0, v224
	v_accvgpr_write_b32 a1, v225
	;; [unrolled: 1-line block ×4, first 2 shown]
	v_mfma_f32_16x16x32_f16 a[84:87], v[62:65], v[98:101], a[84:87]
	s_nop 0
	v_mfma_f32_16x16x32_f16 a[0:3], v[62:65], v[118:121], a[0:3]
	v_mfma_f32_16x16x32_f16 a[192:195], v[62:65], v[102:105], a[52:55]
	ds_read_b128 v[62:65], v0 offset:1536
	ds_write_b128 v151, v[90:93] offset:16
	scratch_load_dword v127, off, off offset:124 ; 4-byte Folded Reload
	v_mfma_f32_16x16x32_f16 a[176:179], v[50:53], v[42:45], a[164:167]
	s_nop 2
	v_accvgpr_read_b32 v245, a3
	v_accvgpr_read_b32 v244, a2
	;; [unrolled: 1-line block ×3, first 2 shown]
	v_mfma_f32_16x16x32_f16 a[98:101], v[50:53], v[110:113], a[168:171]
	v_accvgpr_read_b32 v242, a0
	v_accvgpr_write_b32 a0, v206
	v_accvgpr_write_b32 a1, v207
	;; [unrolled: 1-line block ×4, first 2 shown]
	; sched_group_barrier mask(0x00000100) size(1) SyncID(0)
	; sched_group_barrier mask(0x00000008) size(1) SyncID(0)
	;; [unrolled: 1-line block ×7, first 2 shown]
	s_waitcnt vmcnt(0)
	ds_read2_b64 v[94:97], v127 offset1:32
	v_mfma_f32_16x16x32_f16 a[204:207], v[50:53], v[66:69], a[172:175]
	; sched_group_barrier mask(0x00000100) size(1) SyncID(0)
	; sched_group_barrier mask(0x00000008) size(1) SyncID(0)
	;; [unrolled: 1-line block ×3, first 2 shown]
	v_mfma_f32_16x16x32_f16 a[216:219], v[50:53], v[114:117], a[216:219]
	buffer_load_dwordx4 v[18:21], v18, s[16:19], 0 offen
	; sched_group_barrier mask(0x00000008) size(1) SyncID(0)
	; sched_group_barrier mask(0x00000020) size(1) SyncID(0)
	v_mfma_f32_16x16x32_f16 a[80:83], v[50:53], v[98:101], a[122:125]
	ds_read2_b64 v[70:73], v127 offset0:64 offset1:96
	v_perm_b32 v50, v6, v2, s10
	v_perm_b32 v52, v6, v2, s21
	v_mfma_f32_16x16x32_f16 a[48:51], v[30:33], v[106:109], a[24:27]
	ds_write_b128 v151, a[142:145] offset:48
	v_perm_b32 v51, v14, v10, s10
	v_perm_b32 v53, v14, v10, s21
	v_mfma_f32_16x16x32_f16 a[200:203], v[30:33], v[42:45], a[200:203]
	scratch_load_dword v158, off, off offset:128 ; 4-byte Folded Reload
	v_add_u32_e32 v10, s1, v86
	v_lshlrev_b32_e32 v2, 1, v10
	v_mfma_f32_16x16x32_f16 a[44:47], v[30:33], v[110:113], a[114:117]
	v_perm_b32 v86, v8, v4, s10
	v_perm_b32 v4, v9, v5, s21
	v_mov_b32_e32 v151, v75
	v_mfma_f32_16x16x32_f16 a[32:35], v[30:33], v[66:69], a[106:109]
	v_add_u32_e32 v10, s23, v10
	; sched_group_barrier mask(0x00000008) size(2) SyncID(0)
	; sched_group_barrier mask(0x00000008) size(1) SyncID(0)
	;; [unrolled: 1-line block ×8, first 2 shown]
	v_mfma_f32_16x16x32_f16 a[184:187], v[30:33], v[114:117], a[184:187]
	; sched_group_barrier mask(0x00000008) size(1) SyncID(0)
	s_waitcnt vmcnt(0)
	ds_read2_b64 v[210:213], v158 offset1:32
	v_mfma_f32_16x16x32_f16 a[188:191], v[30:33], v[98:101], a[188:191]
	ds_write_b128 v150, v[50:53] offset:16384
	; sched_group_barrier mask(0x00000100) size(1) SyncID(0)
	; sched_group_barrier mask(0x00000008) size(1) SyncID(0)
	;; [unrolled: 1-line block ×3, first 2 shown]
	v_mfma_f32_16x16x32_f16 a[56:59], v[30:33], v[118:121], a[4:7]
	v_perm_b32 v30, v7, v3, s10
	v_perm_b32 v32, v7, v3, s21
	v_perm_b32 v31, v15, v11, s10
	v_perm_b32 v33, v15, v11, s21
	v_mfma_f32_16x16x32_f16 a[36:39], v[46:49], v[42:45], a[36:39]
	ds_read2_b64 v[78:81], v158 offset0:64 offset1:96
	v_perm_b32 v3, v17, v13, s10
	v_mov_b32_e32 v11, v150
	v_mfma_f32_16x16x32_f16 a[40:43], v[46:49], v[110:113], a[40:43]
	ds_write_b128 v150, v[30:33] offset:16400
	ds_read2_b64 v[238:241], v127 offset0:128 offset1:160
	ds_write_b128 v150, v[86:89] offset:16416
	ds_read2_b64 v[218:221], v158 offset0:128 offset1:160
	buffer_load_dwordx4 v[50:53], v2, s[12:15], 0 offen
	v_mfma_f32_16x16x32_f16 a[102:105], v[58:61], v[106:109], a[60:63]
	ds_read2_b64 v[90:93], v127 offset0:192 offset1:224
	v_lshlrev_b32_e32 v2, 1, v1
	v_add_u32_e32 v1, s7, v1
	v_mfma_f32_16x16x32_f16 a[240:243], v[58:61], v[42:45], a[0:3]
	v_mov_b32_e32 v127, v77
	; sched_group_barrier mask(0x00000008) size(1) SyncID(0)
	; sched_group_barrier mask(0x00000020) size(1) SyncID(0)
	;; [unrolled: 1-line block ×28, first 2 shown]
	v_mfma_f32_16x16x32_f16 a[236:239], v[58:61], v[110:113], a[236:239]
	s_nop 0
	v_accvgpr_write_b32 a0, v198
	v_accvgpr_write_b32 a1, v199
	;; [unrolled: 1-line block ×4, first 2 shown]
	buffer_load_dwordx4 v[30:33], v2, s[16:19], 0 offen
	v_lshlrev_b32_e32 v2, 1, v1
	v_mfma_f32_16x16x32_f16 a[232:235], v[58:61], v[66:69], a[0:3]
	v_add_u32_e32 v1, s7, v1
	; sched_group_barrier mask(0x00000008) size(1) SyncID(0)
	; sched_group_barrier mask(0x00000020) size(1) SyncID(0)
	s_nop 1
	v_accvgpr_write_b32 a0, v194
	v_accvgpr_write_b32 a1, v195
	;; [unrolled: 1-line block ×4, first 2 shown]
	s_nop 1
	v_mfma_f32_16x16x32_f16 a[208:211], v[58:61], v[114:117], a[0:3]
	; sched_group_barrier mask(0x00000008) size(2) SyncID(0)
	s_nop 2
	v_accvgpr_write_b32 a0, v190
	v_accvgpr_write_b32 a1, v191
	;; [unrolled: 1-line block ×4, first 2 shown]
	s_nop 1
	v_mfma_f32_16x16x32_f16 a[180:183], v[58:61], v[98:101], a[0:3]
	ds_read2_b64 v[214:217], v158 offset0:192 offset1:224
	v_accvgpr_read_b32 v158, a8
	; sched_group_barrier mask(0x00000008) size(1) SyncID(0)
	; sched_group_barrier mask(0x00000100) size(1) SyncID(0)
	s_nop 0
	v_accvgpr_write_b32 a0, v202
	v_accvgpr_write_b32 a1, v203
	;; [unrolled: 1-line block ×4, first 2 shown]
	s_nop 1
	v_mfma_f32_16x16x32_f16 a[164:167], v[58:61], v[118:121], a[0:3]
	; sched_group_barrier mask(0x00000008) size(1) SyncID(0)
	; sched_group_barrier mask(0x00000200) size(1) SyncID(0)
	s_nop 2
	v_accvgpr_write_b32 a0, v182
	v_accvgpr_write_b32 a1, v183
	;; [unrolled: 1-line block ×4, first 2 shown]
	s_nop 1
	v_mfma_f32_16x16x32_f16 a[154:157], v[58:61], v[102:105], a[0:3]
	buffer_load_dwordx4 v[46:49], v2, s[16:19], 0 offen
	v_perm_b32 v2, v9, v5, s10
	v_perm_b32 v5, v17, v13, s21
	v_accvgpr_write_b32 a0, v178
	v_accvgpr_write_b32 a1, v179
	v_accvgpr_write_b32 a2, v180
	v_accvgpr_write_b32 a3, v181
	ds_read_b128 v[58:61], v0 offset:2560
	; sched_group_barrier mask(0x00000008) size(1) SyncID(0)
	; sched_group_barrier mask(0x00000020) size(1) SyncID(0)
	s_nop 0
	v_mfma_f32_16x16x32_f16 a[142:145], v[54:57], v[106:109], a[0:3]
	s_nop 2
	v_accvgpr_write_b32 a0, v174
	v_accvgpr_write_b32 a1, v175
	;; [unrolled: 1-line block ×4, first 2 shown]
	s_nop 1
	v_mfma_f32_16x16x32_f16 a[138:141], v[54:57], v[42:45], a[0:3]
	; sched_group_barrier mask(0x00000008) size(2) SyncID(0)
	s_nop 2
	v_accvgpr_write_b32 a0, v170
	v_accvgpr_write_b32 a1, v171
	;; [unrolled: 1-line block ×4, first 2 shown]
	s_nop 1
	v_mfma_f32_16x16x32_f16 a[94:97], v[54:57], v[110:113], a[0:3]
	ds_read_b128 v[6:9], v0 offset:1024
	; sched_group_barrier mask(0x00000008) size(1) SyncID(0)
	; sched_group_barrier mask(0x00000100) size(1) SyncID(0)
	s_nop 1
	v_accvgpr_write_b32 a0, v166
	v_accvgpr_write_b32 a1, v167
	;; [unrolled: 1-line block ×4, first 2 shown]
	s_nop 1
	v_mfma_f32_16x16x32_f16 a[244:247], v[54:57], v[66:69], a[0:3]
	ds_write_b128 v150, v[2:5] offset:16432
	v_lshlrev_b32_e32 v2, 1, v1
	v_mov_b32_e32 v150, v74
	v_accvgpr_write_b32 a0, v162
	v_accvgpr_write_b32 a1, v163
	;; [unrolled: 1-line block ×4, first 2 shown]
	v_add_u32_e32 v1, s8, v1
	; sched_group_barrier mask(0x00000008) size(1) SyncID(0)
	; sched_group_barrier mask(0x00000200) size(1) SyncID(0)
	s_nop 0
	v_mfma_f32_16x16x32_f16 a[76:79], v[54:57], v[114:117], a[0:3]
	buffer_load_dwordx4 v[12:15], v2, s[16:19], 0 offen
	; sched_group_barrier mask(0x00000008) size(1) SyncID(0)
	; sched_group_barrier mask(0x00000020) size(1) SyncID(0)
	s_nop 1
	v_accvgpr_write_b32 a0, v158
	v_accvgpr_write_b32 a1, v159
	;; [unrolled: 1-line block ×4, first 2 shown]
	s_nop 1
	v_mfma_f32_16x16x32_f16 a[64:67], v[54:57], v[98:101], a[0:3]
	s_nop 2
	v_accvgpr_write_b32 a0, v154
	v_accvgpr_write_b32 a1, v155
	;; [unrolled: 1-line block ×4, first 2 shown]
	v_mov_b32_e32 v154, v0
	s_nop 0
	v_mfma_f32_16x16x32_f16 a[110:113], v[54:57], v[118:121], a[0:3]
	; sched_group_barrier mask(0x00000008) size(2) SyncID(0)
	s_nop 2
	v_accvgpr_write_b32 a0, v150
	v_accvgpr_write_b32 a1, v151
	;; [unrolled: 1-line block ×4, first 2 shown]
	v_mov_b32_e32 v151, v16
	v_mov_b32_e32 v150, v11
	v_mfma_f32_16x16x32_f16 a[114:117], v[54:57], v[102:105], a[0:3]
	ds_read_b128 v[2:5], v0 offset:512
	ds_read_b128 v[54:57], v0 offset:3072
	; sched_group_barrier mask(0x00000008) size(1) SyncID(0)
	; sched_group_barrier mask(0x00000100) size(1) SyncID(0)
	s_nop 0
	v_accvgpr_write_b32 a0, v146
	v_accvgpr_write_b32 a1, v147
	v_accvgpr_write_b32 a2, v148
	v_accvgpr_write_b32 a3, v149
	s_nop 1
	v_mfma_f32_16x16x32_f16 a[118:121], v[82:85], v[106:109], a[0:3]
	; sched_group_barrier mask(0x00000008) size(1) SyncID(0)
	; sched_group_barrier mask(0x00000200) size(1) SyncID(0)
	s_nop 2
	v_accvgpr_write_b32 a0, v142
	v_accvgpr_write_b32 a1, v143
	;; [unrolled: 1-line block ×4, first 2 shown]
	s_nop 1
	v_mfma_f32_16x16x32_f16 a[106:109], v[82:85], v[42:45], a[0:3]
	ds_read_b128 v[42:45], v0 offset:3584
	; sched_group_barrier mask(0x00000008) size(1) SyncID(0)
	; sched_group_barrier mask(0x00000020) size(1) SyncID(0)
	s_nop 1
	v_accvgpr_write_b32 a0, v138
	v_accvgpr_write_b32 a1, v139
	;; [unrolled: 1-line block ×4, first 2 shown]
	s_nop 1
	v_mfma_f32_16x16x32_f16 a[60:63], v[82:85], v[110:113], a[0:3]
	s_nop 2
	v_accvgpr_write_b32 a0, v134
	v_accvgpr_write_b32 a1, v135
	;; [unrolled: 1-line block ×4, first 2 shown]
	s_nop 1
	v_mfma_f32_16x16x32_f16 a[220:223], v[82:85], v[66:69], a[0:3]
	ds_read_b128 v[66:69], v0 offset:2048
	; sched_group_barrier mask(0x00000008) size(2) SyncID(0)
	s_nop 1
	v_accvgpr_write_b32 a0, v130
	v_accvgpr_write_b32 a1, v131
	v_accvgpr_write_b32 a2, v132
	v_accvgpr_write_b32 a3, v133
	s_nop 1
	v_mfma_f32_16x16x32_f16 a[52:55], v[82:85], v[114:117], a[0:3]
	s_nop 2
	v_accvgpr_write_b32 a0, v126
	v_accvgpr_write_b32 a1, v127
	v_accvgpr_write_b32 a2, v128
	v_accvgpr_write_b32 a3, v129
	s_nop 1
	v_mfma_f32_16x16x32_f16 a[212:215], v[82:85], v[98:101], a[0:3]
	;; [unrolled: 7-line block ×3, first 2 shown]
	; sched_barrier mask(0x00000000)
	s_waitcnt lgkmcnt(14)
	v_mov_b32_e32 v82, v94
	v_mov_b32_e32 v83, v95
	;; [unrolled: 1-line block ×4, first 2 shown]
	v_accvgpr_read_b32 v110, a88
	v_mov_b32_e32 v98, v70
	v_mov_b32_e32 v99, v71
	s_waitcnt lgkmcnt(13)
	v_mov_b32_e32 v100, v78
	v_mov_b32_e32 v101, v79
	s_waitcnt lgkmcnt(11)
	;; [unrolled: 3-line block ×4, first 2 shown]
	s_barrier
	v_mfma_f32_16x16x32_f16 a[224:227], v[22:25], v[82:85], a[224:227]
	ds_read_b128 v[86:89], v110
	v_mov_b32_e32 v210, v96
	v_mov_b32_e32 v211, v97
	v_mfma_f32_16x16x32_f16 a[28:31], v[22:25], v[98:101], a[28:31]
	v_mov_b32_e32 v78, v72
	v_mov_b32_e32 v79, v73
	;; [unrolled: 1-line block ×3, first 2 shown]
	v_mfma_f32_16x16x32_f16 a[146:149], v[22:25], v[102:105], a[146:149]
	scratch_load_dwordx4 a[0:3], off, off offset:32 ; 16-byte Folded Reload
	v_mov_b32_e32 v219, v241
	v_mov_b32_e32 v106, v90
	;; [unrolled: 1-line block ×7, first 2 shown]
	v_mfma_f32_16x16x32_f16 a[126:129], v[22:25], v[218:221], a[126:129]
	v_accvgpr_write_b32 a16, v248
	v_lshlrev_b32_e32 v11, 1, v10
	v_accvgpr_write_b32 a17, v249
	v_accvgpr_write_b32 a18, v250
	;; [unrolled: 1-line block ×3, first 2 shown]
	v_add_u32_e32 v10, s1, v10
	v_mfma_f32_16x16x32_f16 a[252:255], v[42:45], v[214:217], a[252:255]
	; sched_group_barrier mask(0x00000008) size(1) SyncID(0)
	; sched_group_barrier mask(0x00000100) size(1) SyncID(0)
	;; [unrolled: 1-line block ×6, first 2 shown]
	s_waitcnt vmcnt(0)
	v_mfma_f32_16x16x32_f16 a[134:137], v[22:25], v[210:213], a[0:3]
	; sched_group_barrier mask(0x00000008) size(2) SyncID(0)
	v_mfma_f32_16x16x32_f16 a[20:23], v[22:25], v[214:217], a[20:23]
	; sched_group_barrier mask(0x00000008) size(1) SyncID(0)
	v_mfma_f32_16x16x32_f16 a[168:171], v[2:5], v[210:213], a[176:179]
	v_mfma_f32_16x16x32_f16 a[172:175], v[2:5], v[98:101], a[98:101]
	scratch_load_dword v16, off, off offset:112 ; 4-byte Folded Reload
	v_mfma_f32_16x16x32_f16 a[176:179], v[2:5], v[78:81], a[204:207]
	v_mfma_f32_16x16x32_f16 a[216:219], v[2:5], v[102:105], a[216:219]
	v_mfma_f32_16x16x32_f16 a[204:207], v[2:5], v[218:221], a[80:83]
	s_nop 5
	v_accvgpr_read_b32 v225, a179
	v_accvgpr_read_b32 v224, a178
	v_accvgpr_read_b32 v223, a177
	v_mfma_f32_16x16x32_f16 a[4:7], v[2:5], v[106:109], a[72:75]
	v_accvgpr_read_b32 v222, a176
	v_mfma_f32_16x16x32_f16 a[8:11], v[2:5], v[214:217], a[68:71]
	scratch_load_dwordx4 v[74:77], off, off offset:16 ; 16-byte Folded Reload
	v_mfma_f32_16x16x32_f16 a[24:27], v[6:9], v[82:85], a[48:51]
	v_mfma_f32_16x16x32_f16 a[200:203], v[6:9], v[210:213], a[200:203]
	;; [unrolled: 1-line block ×4, first 2 shown]
	s_waitcnt vmcnt(0)
	ds_write_b128 v16, v[74:77]
	v_mfma_f32_16x16x32_f16 a[184:187], v[6:9], v[102:105], a[184:187]
	buffer_load_dwordx4 v[94:97], v11, s[12:15], 0 offen
	v_lshlrev_b32_e32 v11, 1, v10
	v_add_u32_e32 v10, s1, v10
	v_mfma_f32_16x16x32_f16 a[188:191], v[6:9], v[218:221], a[188:191]
	v_mfma_f32_16x16x32_f16 a[32:35], v[6:9], v[106:109], a[56:59]
	;; [unrolled: 1-line block ×3, first 2 shown]
	scratch_load_dwordx4 a[0:3], off, off offset:48 ; 16-byte Folded Reload
	v_perm_b32 v6, v31, v19, s10
	v_perm_b32 v8, v31, v19, s21
	v_perm_b32 v7, v13, v47, s10
	v_perm_b32 v9, v13, v47, s21
	v_perm_b32 v13, v14, v48, s21
	v_perm_b32 v19, v15, v49, s21
	v_accvgpr_write_b32 a16, v252
	v_accvgpr_write_b32 a17, v253
	;; [unrolled: 1-line block ×3, first 2 shown]
	s_waitcnt vmcnt(0)
	v_mfma_f32_16x16x32_f16 a[130:133], v[22:25], v[78:81], a[0:3]
	scratch_load_dword v17, off, off offset:120 ; 4-byte Folded Reload
	v_accvgpr_write_b32 a19, v255
	s_waitcnt vmcnt(0)
	ds_read2_b64 v[146:149], v17 offset0:192 offset1:224
	ds_read2_b64 v[134:137], v17 offset1:32
	scratch_load_dwordx4 a[0:3], off, off offset:64 ; 16-byte Folded Reload
	s_waitcnt vmcnt(0)
	v_mfma_f32_16x16x32_f16 a[122:125], v[22:25], v[106:109], a[0:3]
	ds_read2_b64 v[138:141], v17 offset0:64 offset1:96
	scratch_load_dwordx4 v[70:73], off, off offset:80 ; 16-byte Folded Reload
	ds_read2_b64 v[142:145], v17 offset0:128 offset1:160
	v_perm_b32 v17, v15, v49, s10
	s_waitcnt vmcnt(0)
	ds_write_b128 v16, v[70:73] offset:16
	buffer_load_dwordx4 v[90:93], v11, s[12:15], 0 offen
	scratch_load_dwordx4 a[0:3], off, off offset:96 ; 16-byte Folded Reload
	v_lshlrev_b32_e32 v11, 1, v10
	v_add_u32_e32 v70, s1, v10
	s_waitcnt vmcnt(0)
	v_mfma_f32_16x16x32_f16 a[0:3], v[2:5], v[82:85], a[0:3]
	buffer_load_dwordx4 v[72:75], v11, s[12:15], 0 offen
	v_perm_b32 v3, v12, v46, s10
	v_perm_b32 v5, v12, v46, s21
	;; [unrolled: 1-line block ×3, first 2 shown]
	ds_read_b128 v[46:49], v110 offset:1536
	ds_write_b128 v16, v[26:29] offset:32
	scratch_load_dword v27, off, off offset:116 ; 4-byte Folded Reload
	s_nop 0
	v_accvgpr_mov_b32 a179, a3
	v_accvgpr_mov_b32 a178, a2
	;; [unrolled: 1-line block ×4, first 2 shown]
	v_accvgpr_write_b32 a0, v228
	v_accvgpr_read_b32 v71, a89
	v_lshlrev_b32_e32 v2, 1, v70
	v_accvgpr_write_b32 a1, v229
	v_accvgpr_write_b32 a2, v230
	v_accvgpr_write_b32 a3, v231
	ds_write_b128 v16, v[50:53] offset:48
	buffer_load_dwordx4 v[206:209], v2, s[12:15], 0 offen
	v_perm_b32 v2, v30, v18, s10
	v_perm_b32 v4, v30, v18, s21
	;; [unrolled: 1-line block ×6, first 2 shown]
	ds_read_b128 v[30:33], v110 offset:1024
	ds_read_b128 v[50:53], v110 offset:512
	ds_read2_b64 v[122:125], v71 offset0:192 offset1:224
	v_mfma_f32_16x16x32_f16 a[68:71], v[62:65], v[82:85], a[16:19]
	; sched_group_barrier mask(0x00000100) size(1) SyncID(0)
	; sched_group_barrier mask(0x00000008) size(1) SyncID(0)
	;; [unrolled: 1-line block ×24, first 2 shown]
	v_mfma_f32_16x16x32_f16 a[36:39], v[62:65], v[210:213], a[36:39]
	; sched_group_barrier mask(0x00000008) size(1) SyncID(0)
	; sched_group_barrier mask(0x00000020) size(1) SyncID(0)
	v_mfma_f32_16x16x32_f16 a[40:43], v[62:65], v[98:101], a[40:43]
	; sched_group_barrier mask(0x00000008) size(2) SyncID(0)
	v_mfma_f32_16x16x32_f16 a[248:251], v[62:65], v[106:109], a[248:251]
	; sched_group_barrier mask(0x00000008) size(1) SyncID(0)
	; sched_group_barrier mask(0x00000100) size(1) SyncID(0)
	v_mfma_f32_16x16x32_f16 a[196:199], v[62:65], v[214:217], a[196:199]
	; sched_group_barrier mask(0x00000008) size(1) SyncID(0)
	;; [unrolled: 3-line block ×3, first 2 shown]
	; sched_group_barrier mask(0x00000020) size(1) SyncID(0)
	v_mfma_f32_16x16x32_f16 a[160:163], v[66:69], v[210:213], a[158:161]
	v_mfma_f32_16x16x32_f16 a[150:153], v[66:69], v[98:101], a[150:153]
	; sched_group_barrier mask(0x00000008) size(2) SyncID(0)
	v_mfma_f32_16x16x32_f16 a[90:93], v[66:69], v[102:105], a[90:93]
	; sched_group_barrier mask(0x00000008) size(1) SyncID(0)
	; sched_group_barrier mask(0x00000100) size(1) SyncID(0)
	v_mfma_f32_16x16x32_f16 a[84:87], v[66:69], v[218:221], a[84:87]
	; sched_group_barrier mask(0x00000008) size(1) SyncID(0)
	;; [unrolled: 3-line block ×4, first 2 shown]
	v_mfma_f32_16x16x32_f16 a[72:75], v[62:65], v[78:81], a[0:3]
	s_nop 2
	v_accvgpr_write_b32 a0, v232
	v_accvgpr_write_b32 a1, v233
	;; [unrolled: 1-line block ×4, first 2 shown]
	s_nop 1
	v_mfma_f32_16x16x32_f16 a[80:83], v[62:65], v[102:105], a[0:3]
	s_nop 2
	v_accvgpr_write_b32 a0, v38
	v_accvgpr_write_b32 a1, v39
	;; [unrolled: 1-line block ×4, first 2 shown]
	s_nop 1
	v_mfma_f32_16x16x32_f16 a[98:101], v[62:65], v[218:221], a[0:3]
	ds_read_b128 v[62:65], v110 offset:2048
	s_nop 1
	v_accvgpr_write_b32 a0, v34
	v_accvgpr_write_b32 a1, v35
	;; [unrolled: 1-line block ×4, first 2 shown]
	s_waitcnt vmcnt(2)
	v_mov_b64_e32 v[34:35], v[72:73]
	v_mov_b64_e32 v[36:37], v[74:75]
	v_mfma_f32_16x16x32_f16 a[16:19], v[66:69], v[78:81], a[0:3]
	s_nop 2
	v_accvgpr_write_b32 a0, v242
	v_accvgpr_write_b32 a1, v243
	;; [unrolled: 1-line block ×4, first 2 shown]
	s_nop 1
	v_mfma_f32_16x16x32_f16 a[0:3], v[66:69], v[106:109], a[0:3]
	s_nop 7
	scratch_store_dwordx4 off, a[0:3], off  ; 16-byte Folded Spill
	s_nop 1
	v_mfma_f32_16x16x32_f16 a[0:3], v[58:61], v[78:81], a[232:235]
	s_nop 7
	v_accvgpr_read_b32 v201, a3
	v_accvgpr_read_b32 v200, a2
	v_accvgpr_read_b32 v199, a1
	v_accvgpr_read_b32 v198, a0
	v_mfma_f32_16x16x32_f16 a[0:3], v[58:61], v[102:105], a[208:211]
	s_nop 7
	v_accvgpr_read_b32 v197, a3
	v_accvgpr_read_b32 v196, a2
	v_accvgpr_read_b32 v195, a1
	v_accvgpr_read_b32 v194, a0
	;; [unrolled: 6-line block ×4, first 2 shown]
	v_mfma_f32_16x16x32_f16 a[0:3], v[58:61], v[214:217], a[154:157]
	s_nop 2
	v_accvgpr_mov_b32 a156, a160
	v_accvgpr_mov_b32 a157, a161
	;; [unrolled: 1-line block ×4, first 2 shown]
	s_nop 0
	v_accvgpr_read_b32 v185, a3
	v_accvgpr_read_b32 v184, a2
	v_accvgpr_read_b32 v183, a1
	v_accvgpr_read_b32 v182, a0
	v_mfma_f32_16x16x32_f16 a[0:3], v[54:57], v[82:85], a[142:145]
	s_nop 7
	v_accvgpr_read_b32 v181, a3
	v_accvgpr_read_b32 v180, a2
	v_accvgpr_read_b32 v179, a1
	v_accvgpr_read_b32 v178, a0
	v_mfma_f32_16x16x32_f16 a[0:3], v[54:57], v[210:213], a[138:141]
	;; [unrolled: 6-line block ×3, first 2 shown]
	v_mfma_f32_16x16x32_f16 a[94:97], v[42:45], v[218:221], a[212:215]
	s_nop 6
	v_accvgpr_read_b32 v173, a3
	v_accvgpr_read_b32 v172, a2
	;; [unrolled: 1-line block ×4, first 2 shown]
	v_mfma_f32_16x16x32_f16 a[0:3], v[54:57], v[78:81], a[244:247]
	s_nop 7
	v_accvgpr_read_b32 v189, a3
	v_accvgpr_read_b32 v188, a2
	;; [unrolled: 1-line block ×4, first 2 shown]
	v_mfma_f32_16x16x32_f16 a[0:3], v[54:57], v[102:105], a[76:79]
	s_nop 2
	v_accvgpr_mov_b32 a76, a248
	v_accvgpr_mov_b32 a77, a249
	;; [unrolled: 1-line block ×4, first 2 shown]
	v_mfma_f32_16x16x32_f16 a[248:251], v[42:45], v[106:109], a[228:231]
	v_accvgpr_read_b32 v167, a3
	v_accvgpr_read_b32 v166, a2
	v_accvgpr_read_b32 v165, a1
	v_accvgpr_read_b32 v164, a0
	v_mfma_f32_16x16x32_f16 a[0:3], v[54:57], v[218:221], a[64:67]
	v_mfma_f32_16x16x32_f16 a[64:67], v[54:57], v[106:109], a[110:113]
	v_mfma_f32_16x16x32_f16 a[110:113], v[42:45], v[78:81], a[220:223]
	s_nop 5
	v_accvgpr_read_b32 v163, a3
	v_accvgpr_read_b32 v162, a2
	;; [unrolled: 1-line block ×4, first 2 shown]
	v_mfma_f32_16x16x32_f16 a[138:141], v[42:45], v[82:85], a[118:121]
	ds_read_b128 v[82:85], v110 offset:3584
	v_accvgpr_mov_b32 a223, a93
	v_accvgpr_mov_b32 a222, a92
	v_mfma_f32_16x16x32_f16 a[118:121], v[42:45], v[210:213], a[106:109]
	s_waitcnt vmcnt(2)
	ds_write_b128 v27, v[16:19] offset:16432
	v_accvgpr_mov_b32 a221, a91
	v_accvgpr_mov_b32 a220, a90
	v_mfma_f32_16x16x32_f16 a[0:3], v[54:57], v[214:217], a[114:117]
	ds_read_b128 v[54:57], v110 offset:3072
	v_accvgpr_mov_b32 a90, a150
	v_accvgpr_mov_b32 a91, a151
	v_mfma_f32_16x16x32_f16 a[114:117], v[42:45], v[98:101], a[60:63]
	ds_read2_b64 v[22:25], v71 offset1:32
	ds_write_b128 v27, v[6:9] offset:16400
	ds_read2_b64 v[126:129], v71 offset0:64 offset1:96
	ds_write_b128 v27, v[10:13] offset:16416
	ds_read2_b64 v[130:133], v71 offset0:128 offset1:160
	v_mfma_f32_16x16x32_f16 a[236:239], v[58:61], v[98:101], a[236:239]
	ds_write_b128 v27, v[2:5] offset:16384
	v_lshlrev_b32_e32 v2, 1, v1
	v_add_u32_e32 v1, s7, v1
	v_lshlrev_b32_e32 v6, 1, v1
	v_add_u32_e32 v1, s7, v1
	;; [unrolled: 2-line block ×3, first 2 shown]
	v_lshlrev_b32_e32 v14, 1, v1
	buffer_load_dwordx4 v[2:5], v2, s[16:19], 0 offen
	v_mfma_f32_16x16x32_f16 a[240:243], v[58:61], v[210:213], a[240:243]
	buffer_load_dwordx4 v[6:9], v6, s[16:19], 0 offen
	ds_read_b128 v[58:61], v110 offset:2560
	buffer_load_dwordx4 v[10:13], v10, s[16:19], 0 offen
	v_accvgpr_mov_b32 a60, a102
	buffer_load_dwordx4 v[14:17], v14, s[16:19], 0 offen
	v_mfma_f32_16x16x32_f16 a[106:109], v[42:45], v[102:105], a[52:55]
	v_accvgpr_mov_b32 a61, a103
	v_accvgpr_mov_b32 a62, a104
	;; [unrolled: 1-line block ×25, first 2 shown]
	; sched_group_barrier mask(0x00000008) size(1) SyncID(0)
	; sched_group_barrier mask(0x00000100) size(1) SyncID(0)
	;; [unrolled: 1-line block ×35, first 2 shown]
	; sched_barrier mask(0x00000000)
	s_add_i32 s6, s6, 2
	s_cmp_lt_i32 s6, s30
	s_waitcnt lgkmcnt(14)
	v_mov_b32_e32 v106, v134
	v_mov_b32_e32 v107, v135
	s_waitcnt lgkmcnt(6)
	v_mov_b32_e32 v108, v22
	v_mov_b32_e32 v109, v23
	v_mov_b32_e32 v42, v136
	v_mov_b32_e32 v43, v137
	v_mov_b32_e32 v44, v24
	v_mov_b32_e32 v45, v25
	v_mov_b32_e32 v110, v138
	v_mov_b32_e32 v111, v139
	s_waitcnt lgkmcnt(4)
	v_mov_b32_e32 v112, v126
	v_mov_b32_e32 v113, v127
	v_mov_b32_e32 v66, v140
	v_mov_b32_e32 v67, v141
	v_mov_b32_e32 v68, v128
	v_mov_b32_e32 v69, v129
	;; [unrolled: 9-line block ×3, first 2 shown]
	v_mov_b32_e32 v118, v146
	v_mov_b32_e32 v119, v147
	;; [unrolled: 1-line block ×8, first 2 shown]
	s_cbranch_scc1 .LBB1_10
; %bb.11:
	scratch_store_dwordx4 off, a[106:109], off offset:16 ; 16-byte Folded Spill
	s_waitcnt lgkmcnt(0)
	s_barrier
	scratch_load_dword v26, off, off offset:140 ; 4-byte Folded Reload
	v_mov_b32_e32 v42, v134
	v_mov_b32_e32 v43, v135
	;; [unrolled: 1-line block ×4, first 2 shown]
	v_accvgpr_mov_b32 a163, a67
	v_mov_b32_e32 v22, v136
	v_mfma_f32_16x16x32_f16 a[4:7], v[86:89], v[42:45], a[4:7]
	v_mov_b32_e32 v23, v137
	v_mov_b32_e32 v66, v138
	;; [unrolled: 1-line block ×8, first 2 shown]
	v_accvgpr_read_b32 v41, a7
	v_mov_b32_e32 v75, v143
	v_mov_b32_e32 v76, v130
	;; [unrolled: 1-line block ×11, first 2 shown]
	v_accvgpr_mov_b32 a162, a66
	v_accvgpr_mov_b32 a161, a65
	;; [unrolled: 1-line block ×3, first 2 shown]
	v_accvgpr_read_b32 v40, a6
	v_accvgpr_read_b32 v39, a5
	;; [unrolled: 1-line block ×3, first 2 shown]
	ds_write_b128 v151, v[94:97]
	v_mfma_f32_16x16x32_f16 a[208:211], v[86:89], v[22:25], a[134:137]
	ds_read_b128 v[18:21], v0
	s_mov_b32 s1, 0x5040100
	s_mov_b32 s6, 0x7060302
	v_mfma_f32_16x16x32_f16 a[64:67], v[86:89], v[66:69], a[28:31]
	s_waitcnt vmcnt(4)
	v_perm_b32 v28, v6, v2, s6
	s_waitcnt vmcnt(2)
	v_perm_b32 v27, v14, v10, s1
	v_perm_b32 v29, v14, v10, s6
	v_mfma_f32_16x16x32_f16 a[232:235], v[86:89], v[126:129], a[130:133]
	v_accvgpr_mov_b32 a183, a121
	v_accvgpr_mov_b32 a227, a117
	;; [unrolled: 1-line block ×3, first 2 shown]
	v_mfma_f32_16x16x32_f16 a[148:151], v[86:89], v[74:77], a[146:149]
	v_accvgpr_mov_b32 a182, a120
	v_accvgpr_mov_b32 a181, a119
	;; [unrolled: 1-line block ×3, first 2 shown]
	v_mfma_f32_16x16x32_f16 a[244:247], v[86:89], v[130:133], a[126:129]
	ds_write_b128 v151, v[90:93] offset:16
	v_accvgpr_mov_b32 a226, a116
	v_accvgpr_mov_b32 a225, a115
	v_mfma_f32_16x16x32_f16 a[28:31], v[86:89], v[78:81], a[122:125]
	v_accvgpr_mov_b32 a224, a114
	v_accvgpr_mov_b32 a214, a112
	v_accvgpr_mov_b32 a213, a111
	v_accvgpr_mov_b32 a212, a110
	v_accvgpr_mov_b32 a231, a141
	v_accvgpr_mov_b32 a230, a140
	v_accvgpr_mov_b32 a229, a139
	v_accvgpr_mov_b32 a228, a138
	; sched_group_barrier mask(0x00000008) size(1) SyncID(0)
	; sched_group_barrier mask(0x00000200) size(1) SyncID(0)
	;; [unrolled: 1-line block ×10, first 2 shown]
	s_waitcnt vmcnt(0)
	v_add_u32_e32 v1, 0x4000, v26
	ds_read2_b64 v[70:73], v1 offset1:32
	v_mfma_f32_16x16x32_f16 a[4:7], v[86:89], v[122:125], a[20:23]
	; sched_group_barrier mask(0x00000100) size(1) SyncID(0)
	; sched_group_barrier mask(0x00000008) size(1) SyncID(0)
	;; [unrolled: 1-line block ×3, first 2 shown]
	v_mfma_f32_16x16x32_f16 a[20:23], v[82:85], v[122:125], a[252:255]
	s_nop 6
	v_accvgpr_read_b32 v141, a7
	v_accvgpr_read_b32 v140, a6
	;; [unrolled: 1-line block ×4, first 2 shown]
	v_mfma_f32_16x16x32_f16 a[4:7], v[50:53], v[42:45], a[176:179]
	s_nop 7
	v_accvgpr_read_b32 v145, a7
	v_accvgpr_read_b32 v144, a6
	;; [unrolled: 1-line block ×4, first 2 shown]
	v_mfma_f32_16x16x32_f16 a[4:7], v[50:53], v[22:25], a[168:171]
	; sched_group_barrier mask(0x00000008) size(2) SyncID(0)
	s_nop 7
	v_accvgpr_read_b32 v149, a7
	v_accvgpr_read_b32 v148, a6
	;; [unrolled: 1-line block ×4, first 2 shown]
	v_mfma_f32_16x16x32_f16 a[4:7], v[50:53], v[66:69], a[172:175]
	ds_write_b128 v151, v[34:37] offset:32
	v_add_u32_e32 v34, 0x4800, v26
	v_perm_b32 v26, v6, v2, s1
	v_perm_b32 v2, v9, v5, s1
	; sched_group_barrier mask(0x00000008) size(1) SyncID(0)
	; sched_group_barrier mask(0x00000200) size(1) SyncID(0)
	s_nop 3
	v_accvgpr_read_b32 v213, a7
	v_accvgpr_read_b32 v212, a6
	;; [unrolled: 1-line block ×4, first 2 shown]
	v_accvgpr_write_b32 a4, v222
	v_accvgpr_write_b32 a5, v223
	;; [unrolled: 1-line block ×4, first 2 shown]
	s_nop 1
	v_mfma_f32_16x16x32_f16 a[4:7], v[50:53], v[126:129], a[4:7]
	ds_read2_b64 v[86:89], v34 offset1:32
	; sched_group_barrier mask(0x00000008) size(1) SyncID(0)
	; sched_group_barrier mask(0x00000100) size(1) SyncID(0)
	s_nop 6
	v_accvgpr_read_b32 v217, a7
	v_accvgpr_read_b32 v216, a6
	;; [unrolled: 1-line block ×4, first 2 shown]
	v_mfma_f32_16x16x32_f16 a[4:7], v[50:53], v[74:77], a[216:219]
	; sched_group_barrier mask(0x00000008) size(1) SyncID(0)
	; sched_group_barrier mask(0x00000100) size(0) SyncID(0)
	v_mfma_f32_16x16x32_f16 a[104:107], v[50:53], v[78:81], a[102:105]
	s_nop 6
	v_accvgpr_read_b32 v221, a7
	v_accvgpr_read_b32 v220, a6
	;; [unrolled: 1-line block ×4, first 2 shown]
	v_mfma_f32_16x16x32_f16 a[4:7], v[50:53], v[130:133], a[204:207]
	; sched_group_barrier mask(0x00000008) size(2) SyncID(0)
	s_nop 7
	v_accvgpr_read_b32 v225, a7
	v_accvgpr_read_b32 v224, a6
	;; [unrolled: 1-line block ×4, first 2 shown]
	v_mfma_f32_16x16x32_f16 a[4:7], v[50:53], v[122:125], a[192:195]
	ds_write_b128 v151, v[206:209] offset:48
	; sched_group_barrier mask(0x00000008) size(1) SyncID(0)
	; sched_group_barrier mask(0x00000200) size(1) SyncID(0)
	s_nop 6
	v_accvgpr_read_b32 v229, a7
	v_accvgpr_read_b32 v228, a6
	;; [unrolled: 1-line block ×4, first 2 shown]
	v_mfma_f32_16x16x32_f16 a[4:7], v[30:33], v[42:45], a[24:27]
	ds_read2_b64 v[50:53], v1 offset0:64 offset1:96
	; sched_group_barrier mask(0x00000008) size(1) SyncID(0)
	; sched_group_barrier mask(0x00000100) size(1) SyncID(0)
	s_nop 6
	v_accvgpr_read_b32 v209, a7
	v_accvgpr_read_b32 v208, a6
	;; [unrolled: 1-line block ×4, first 2 shown]
	v_mfma_f32_16x16x32_f16 a[4:7], v[30:33], v[22:25], a[200:203]
	; sched_group_barrier mask(0x00000008) size(1) SyncID(0)
	; sched_group_barrier mask(0x00000100) size(0) SyncID(0)
	v_mfma_f32_16x16x32_f16 a[48:51], v[30:33], v[66:69], a[48:51]
	s_nop 6
	v_accvgpr_read_b32 v233, a7
	v_accvgpr_read_b32 v232, a6
	v_accvgpr_read_b32 v231, a5
	v_accvgpr_read_b32 v230, a4
	v_mfma_f32_16x16x32_f16 a[4:7], v[30:33], v[126:129], a[44:47]
	; sched_group_barrier mask(0x00000008) size(2) SyncID(0)
	s_nop 7
	v_accvgpr_read_b32 v237, a7
	v_accvgpr_read_b32 v236, a6
	;; [unrolled: 1-line block ×4, first 2 shown]
	v_mfma_f32_16x16x32_f16 a[4:7], v[30:33], v[74:77], a[184:187]
	ds_write_b128 v150, v[26:29] offset:16384
	v_perm_b32 v26, v7, v3, s1
	v_perm_b32 v28, v7, v3, s6
	v_perm_b32 v27, v15, v11, s1
	v_perm_b32 v29, v15, v11, s6
	v_perm_b32 v3, v17, v13, s1
	; sched_group_barrier mask(0x00000008) size(1) SyncID(0)
	; sched_group_barrier mask(0x00000200) size(1) SyncID(0)
	s_nop 1
	v_accvgpr_read_b32 v241, a7
	v_accvgpr_read_b32 v240, a6
	;; [unrolled: 1-line block ×4, first 2 shown]
	v_mfma_f32_16x16x32_f16 a[4:7], v[30:33], v[130:133], a[188:191]
	ds_read2_b64 v[90:93], v34 offset0:64 offset1:96
	; sched_group_barrier mask(0x00000008) size(1) SyncID(0)
	; sched_group_barrier mask(0x00000100) size(1) SyncID(0)
	s_nop 6
	v_accvgpr_read_b32 v245, a7
	v_accvgpr_read_b32 v244, a6
	;; [unrolled: 1-line block ×4, first 2 shown]
	v_mfma_f32_16x16x32_f16 a[4:7], v[30:33], v[78:81], a[32:35]
	; sched_group_barrier mask(0x00000008) size(1) SyncID(0)
	; sched_group_barrier mask(0x00000100) size(0) SyncID(0)
	v_mfma_f32_16x16x32_f16 a[68:71], v[46:49], v[42:45], a[68:71]
	s_nop 6
	v_accvgpr_read_b32 v249, a7
	v_accvgpr_read_b32 v248, a6
	;; [unrolled: 1-line block ×4, first 2 shown]
	v_mfma_f32_16x16x32_f16 a[4:7], v[30:33], v[122:125], a[56:59]
	; sched_group_barrier mask(0x00000008) size(2) SyncID(0)
	s_nop 7
	v_accvgpr_read_b32 v253, a7
	v_accvgpr_read_b32 v252, a6
	;; [unrolled: 1-line block ×4, first 2 shown]
	v_mfma_f32_16x16x32_f16 a[4:7], v[46:49], v[22:25], a[36:39]
	ds_write_b128 v150, v[26:29] offset:16400
	v_perm_b32 v26, v8, v4, s1
	v_perm_b32 v28, v8, v4, s6
	;; [unrolled: 1-line block ×6, first 2 shown]
	ds_read_b128 v[10:13], v0 offset:2560
	v_accvgpr_read_b32 v137, a7
	v_accvgpr_read_b32 v136, a6
	;; [unrolled: 1-line block ×4, first 2 shown]
	v_mfma_f32_16x16x32_f16 a[4:7], v[46:49], v[66:69], a[40:43]
	ds_read2_b64 v[94:97], v1 offset0:128 offset1:160
	ds_read_b128 v[6:9], v0 offset:3072
	s_mul_i32 s1, s3, s29
	s_mul_hi_u32 s3, 0, s29
	s_add_i32 s1, s3, s1
	; sched_group_barrier mask(0x00000008) size(1) SyncID(0)
	; sched_group_barrier mask(0x00000200) size(1) SyncID(0)
	;; [unrolled: 1-line block ×4, first 2 shown]
	s_nop 2
	v_accvgpr_read_b32 v113, a7
	v_accvgpr_read_b32 v112, a6
	v_accvgpr_read_b32 v111, a5
	v_accvgpr_read_b32 v110, a4
	v_mfma_f32_16x16x32_f16 a[4:7], v[46:49], v[126:129], a[72:75]
	; sched_group_barrier mask(0x00000008) size(1) SyncID(0)
	; sched_group_barrier mask(0x00000100) size(0) SyncID(0)
	s_nop 7
	v_accvgpr_read_b32 v117, a7
	v_accvgpr_read_b32 v116, a6
	;; [unrolled: 1-line block ×4, first 2 shown]
	v_mfma_f32_16x16x32_f16 a[4:7], v[46:49], v[74:77], a[80:83]
	s_nop 7
	v_accvgpr_read_b32 v121, a7
	v_accvgpr_read_b32 v120, a6
	;; [unrolled: 1-line block ×4, first 2 shown]
	v_mfma_f32_16x16x32_f16 a[4:7], v[46:49], v[130:133], a[98:101]
	; sched_group_barrier mask(0x00000008) size(2) SyncID(0)
	s_nop 7
	v_accvgpr_read_b32 v109, a7
	v_accvgpr_read_b32 v108, a6
	;; [unrolled: 1-line block ×4, first 2 shown]
	v_mfma_f32_16x16x32_f16 a[4:7], v[46:49], v[78:81], a[76:79]
	ds_write_b128 v150, v[26:29] offset:16416
	; sched_group_barrier mask(0x00000008) size(1) SyncID(0)
	; sched_group_barrier mask(0x00000200) size(1) SyncID(0)
	s_nop 6
	v_accvgpr_read_b32 v155, a7
	v_accvgpr_read_b32 v154, a6
	;; [unrolled: 1-line block ×4, first 2 shown]
	v_mfma_f32_16x16x32_f16 a[4:7], v[46:49], v[122:125], a[8:11]
	ds_read2_b64 v[98:101], v34 offset0:128 offset1:160
	; sched_group_barrier mask(0x00000008) size(1) SyncID(0)
	; sched_group_barrier mask(0x00000100) size(1) SyncID(0)
	v_mfma_f32_16x16x32_f16 a[100:103], v[62:65], v[42:45], a[12:15]
	; sched_group_barrier mask(0x00000008) size(1) SyncID(0)
	; sched_group_barrier mask(0x00000100) size(0) SyncID(0)
	v_mfma_f32_16x16x32_f16 a[156:159], v[62:65], v[22:25], a[156:159]
	s_nop 4
	v_accvgpr_read_b32 v159, a7
	v_accvgpr_read_b32 v158, a6
	v_accvgpr_read_b32 v157, a5
	v_accvgpr_read_b32 v156, a4
	scratch_load_dwordx4 a[4:7], off, off   ; 16-byte Folded Reload
	v_mfma_f32_16x16x32_f16 a[108:111], v[62:65], v[66:69], a[90:93]
	; sched_group_barrier mask(0x00000008) size(2) SyncID(0)
	v_mfma_f32_16x16x32_f16 a[112:115], v[62:65], v[126:129], a[16:19]
	ds_write_b128 v150, v[2:5] offset:16432
	ds_read_b128 v[2:5], v0 offset:3584
	; sched_group_barrier mask(0x00000008) size(1) SyncID(0)
	; sched_group_barrier mask(0x00000200) size(1) SyncID(0)
	v_mfma_f32_16x16x32_f16 a[116:119], v[62:65], v[74:77], a[220:223]
	ds_read2_b64 v[102:105], v1 offset0:192 offset1:224
	; sched_group_barrier mask(0x00000008) size(1) SyncID(0)
	; sched_group_barrier mask(0x00000100) size(1) SyncID(0)
	v_mfma_f32_16x16x32_f16 a[196:199], v[62:65], v[130:133], a[84:87]
	; sched_group_barrier mask(0x00000008) size(1) SyncID(0)
	; sched_group_barrier mask(0x00000100) size(0) SyncID(0)
	s_waitcnt vmcnt(0)
	v_mfma_f32_16x16x32_f16 a[32:35], v[62:65], v[78:81], a[4:7]
	s_nop 2
	v_accvgpr_write_b32 a4, v198
	v_accvgpr_write_b32 a5, v199
	;; [unrolled: 1-line block ×4, first 2 shown]
	v_mfma_f32_16x16x32_f16 a[192:195], v[62:65], v[122:125], a[52:55]
	; sched_group_barrier mask(0x00000008) size(2) SyncID(0)
	v_mfma_f32_16x16x32_f16 a[204:207], v[58:61], v[42:45], a[60:63]
	; sched_group_barrier mask(0x00000008) size(1) SyncID(0)
	; sched_group_barrier mask(0x00000200) size(1) SyncID(0)
	v_mfma_f32_16x16x32_f16 a[200:203], v[58:61], v[22:25], a[240:243]
	ds_read2_b64 v[62:65], v34 offset0:192 offset1:224
	; sched_group_barrier mask(0x00000008) size(1) SyncID(0)
	; sched_group_barrier mask(0x00000100) size(1) SyncID(0)
	v_mfma_f32_16x16x32_f16 a[176:179], v[58:61], v[66:69], a[236:239]
	; sched_group_barrier mask(0x00000008) size(1) SyncID(0)
	; sched_group_barrier mask(0x00000100) size(0) SyncID(0)
	v_mfma_f32_16x16x32_f16 a[172:175], v[58:61], v[126:129], a[4:7]
	s_nop 2
	v_accvgpr_write_b32 a4, v194
	v_accvgpr_write_b32 a5, v195
	;; [unrolled: 1-line block ×4, first 2 shown]
	s_nop 1
	v_mfma_f32_16x16x32_f16 a[120:123], v[58:61], v[74:77], a[4:7]
	; sched_group_barrier mask(0x00000008) size(2) SyncID(0)
	s_nop 2
	v_accvgpr_write_b32 a4, v190
	v_accvgpr_write_b32 a5, v191
	;; [unrolled: 1-line block ×4, first 2 shown]
	s_nop 1
	v_mfma_f32_16x16x32_f16 a[124:127], v[58:61], v[130:133], a[4:7]
	; sched_group_barrier mask(0x00000008) size(1) SyncID(0)
	; sched_group_barrier mask(0x00000200) size(1) SyncID(0)
	s_nop 2
	v_accvgpr_write_b32 a4, v202
	v_accvgpr_write_b32 a5, v203
	;; [unrolled: 1-line block ×4, first 2 shown]
	s_nop 1
	v_mfma_f32_16x16x32_f16 a[128:131], v[58:61], v[78:81], a[4:7]
	ds_read_b128 v[30:33], v0 offset:512
	; sched_group_barrier mask(0x00000008) size(1) SyncID(0)
	; sched_group_barrier mask(0x00000100) size(1) SyncID(0)
	s_nop 1
	v_accvgpr_write_b32 a4, v182
	v_accvgpr_write_b32 a5, v183
	;; [unrolled: 1-line block ×4, first 2 shown]
	s_nop 1
	v_mfma_f32_16x16x32_f16 a[132:135], v[58:61], v[122:125], a[4:7]
	; sched_group_barrier mask(0x00000008) size(1) SyncID(0)
	; sched_group_barrier mask(0x00000100) size(0) SyncID(0)
	s_nop 2
	v_accvgpr_write_b32 a4, v178
	v_accvgpr_write_b32 a5, v179
	;; [unrolled: 1-line block ×4, first 2 shown]
	s_nop 1
	v_mfma_f32_16x16x32_f16 a[136:139], v[54:57], v[42:45], a[4:7]
	s_nop 2
	v_accvgpr_write_b32 a4, v174
	v_accvgpr_write_b32 a5, v175
	;; [unrolled: 1-line block ×4, first 2 shown]
	s_nop 1
	v_mfma_f32_16x16x32_f16 a[140:143], v[54:57], v[22:25], a[4:7]
	; sched_group_barrier mask(0x00000008) size(2) SyncID(0)
	s_nop 2
	v_accvgpr_write_b32 a4, v170
	v_accvgpr_write_b32 a5, v171
	;; [unrolled: 1-line block ×4, first 2 shown]
	s_nop 1
	v_mfma_f32_16x16x32_f16 a[144:147], v[54:57], v[66:69], a[4:7]
	; sched_group_barrier mask(0x00000008) size(1) SyncID(0)
	; sched_group_barrier mask(0x00000200) size(1) SyncID(0)
	s_nop 2
	v_accvgpr_write_b32 a4, v186
	v_accvgpr_write_b32 a5, v187
	v_accvgpr_write_b32 a6, v188
	v_accvgpr_write_b32 a7, v189
	s_nop 1
	v_mfma_f32_16x16x32_f16 a[4:7], v[54:57], v[126:129], a[4:7]
	ds_read_b128 v[26:29], v0 offset:1024
	; sched_group_barrier mask(0x00000008) size(1) SyncID(0)
	; sched_group_barrier mask(0x00000100) size(1) SyncID(0)
	s_nop 6
	v_accvgpr_read_b32 v61, a7
	v_accvgpr_read_b32 v60, a6
	;; [unrolled: 1-line block ×4, first 2 shown]
	v_accvgpr_write_b32 a4, v164
	v_accvgpr_write_b32 a5, v165
	v_accvgpr_write_b32 a6, v166
	v_accvgpr_write_b32 a7, v167
	s_nop 1
	v_mfma_f32_16x16x32_f16 a[152:155], v[54:57], v[74:77], a[4:7]
	; sched_group_barrier mask(0x00000008) size(1) SyncID(0)
	; sched_group_barrier mask(0x00000100) size(0) SyncID(0)
	s_nop 2
	v_accvgpr_write_b32 a4, v160
	v_accvgpr_write_b32 a5, v161
	;; [unrolled: 1-line block ×4, first 2 shown]
	s_nop 1
	v_mfma_f32_16x16x32_f16 a[4:7], v[54:57], v[130:133], a[4:7]
	s_nop 7
	v_accvgpr_read_b32 v163, a7
	v_accvgpr_read_b32 v162, a6
	;; [unrolled: 1-line block ×4, first 2 shown]
	v_accvgpr_mov_b32 a4, a160
	v_accvgpr_mov_b32 a5, a161
	v_accvgpr_mov_b32 a6, a162
	v_accvgpr_mov_b32 a7, a163
	s_nop 1
	v_mfma_f32_16x16x32_f16 a[160:163], v[54:57], v[78:81], a[4:7]
	; sched_group_barrier mask(0x00000008) size(2) SyncID(0)
	v_mfma_f32_16x16x32_f16 a[164:167], v[54:57], v[122:125], a[0:3]
	; sched_group_barrier mask(0x00000008) size(1) SyncID(0)
	; sched_group_barrier mask(0x00000200) size(1) SyncID(0)
	s_nop 2
	v_accvgpr_mov_b32 a0, a228
	v_accvgpr_mov_b32 a1, a229
	;; [unrolled: 1-line block ×4, first 2 shown]
	v_mfma_f32_16x16x32_f16 a[228:231], v[82:85], v[78:81], a[248:251]
	s_nop 0
	v_mfma_f32_16x16x32_f16 a[168:171], v[82:85], v[42:45], a[0:3]
	ds_read_b128 v[14:17], v0 offset:1536
	; sched_group_barrier mask(0x00000008) size(1) SyncID(0)
	; sched_group_barrier mask(0x00000100) size(1) SyncID(0)
	s_nop 1
	v_accvgpr_mov_b32 a0, a180
	v_accvgpr_mov_b32 a1, a181
	;; [unrolled: 1-line block ×4, first 2 shown]
	s_nop 1
	v_mfma_f32_16x16x32_f16 a[180:183], v[82:85], v[22:25], a[0:3]
	ds_read_b128 v[22:25], v0 offset:2048
	; sched_group_barrier mask(0x00000008) size(1) SyncID(0)
	; sched_group_barrier mask(0x00000100) size(0) SyncID(0)
	s_nop 1
	v_accvgpr_mov_b32 a0, a224
	v_accvgpr_mov_b32 a1, a225
	;; [unrolled: 1-line block ×4, first 2 shown]
	v_mfma_f32_16x16x32_f16 a[224:227], v[82:85], v[130:133], a[94:97]
	s_nop 0
	v_mfma_f32_16x16x32_f16 a[184:187], v[82:85], v[66:69], a[0:3]
	s_nop 2
	v_accvgpr_mov_b32 a0, a212
	v_accvgpr_mov_b32 a1, a213
	;; [unrolled: 1-line block ×4, first 2 shown]
	s_nop 1
	v_mfma_f32_16x16x32_f16 a[188:191], v[82:85], v[126:129], a[0:3]
	; sched_group_barrier mask(0x00000008) size(2) SyncID(0)
	s_nop 2
	scratch_load_dwordx4 a[0:3], off, off offset:16 ; 16-byte Folded Reload
	s_waitcnt vmcnt(0)
	v_mfma_f32_16x16x32_f16 a[212:215], v[82:85], v[74:77], a[0:3]
	; sched_barrier mask(0x00000000)
	s_nop 2
	v_accvgpr_write_b32 a0, v38
	v_accvgpr_write_b32 a36, v138
	s_waitcnt lgkmcnt(14)
	v_mov_b32_e32 v34, v70
	v_mov_b32_e32 v35, v71
	;; [unrolled: 1-line block ×4, first 2 shown]
	v_accvgpr_write_b32 a1, v39
	v_accvgpr_write_b32 a2, v40
	;; [unrolled: 1-line block ×3, first 2 shown]
	v_mov_b32_e32 v86, v72
	v_mov_b32_e32 v87, v73
	;; [unrolled: 1-line block ×8, first 2 shown]
	s_waitcnt lgkmcnt(4)
	v_mov_b32_e32 v48, v62
	v_mov_b32_e32 v49, v63
	;; [unrolled: 1-line block ×4, first 2 shown]
	v_accvgpr_write_b32 a37, v139
	v_accvgpr_write_b32 a38, v140
	;; [unrolled: 1-line block ×3, first 2 shown]
	v_mfma_f32_16x16x32_f16 a[0:3], v[18:21], v[34:37], a[0:3]
	v_mov_b32_e32 v42, v94
	v_mov_b32_e32 v43, v95
	;; [unrolled: 1-line block ×3, first 2 shown]
	v_mfma_f32_16x16x32_f16 a[4:7], v[18:21], v[86:89], a[208:211]
	v_mov_b32_e32 v45, v99
	v_mov_b32_e32 v98, v96
	;; [unrolled: 1-line block ×3, first 2 shown]
	v_mfma_f32_16x16x32_f16 a[8:11], v[18:21], v[38:41], a[64:67]
	v_mov_b32_e32 v46, v102
	v_mov_b32_e32 v47, v103
	v_accvgpr_write_b32 a40, v230
	v_mfma_f32_16x16x32_f16 a[12:15], v[18:21], v[90:93], a[232:235]
	v_accvgpr_write_b32 a52, v238
	v_accvgpr_write_b32 a56, v242
	;; [unrolled: 1-line block ×3, first 2 shown]
	v_mfma_f32_16x16x32_f16 a[252:255], v[18:21], v[62:65], a[36:39]
	v_accvgpr_write_b32 a64, v250
	v_accvgpr_write_b32 a72, v134
	;; [unrolled: 1-line block ×7, first 2 shown]
	v_mfma_f32_16x16x32_f16 a[16:19], v[18:21], v[42:45], a[148:151]
	v_accvgpr_write_b32 a80, v114
	v_accvgpr_write_b32 a84, v118
	v_accvgpr_write_b32 a88, v106
	v_mfma_f32_16x16x32_f16 a[24:27], v[18:21], v[98:101], a[244:247]
	v_accvgpr_write_b32 a92, v152
	v_accvgpr_write_b32 a96, v156
	v_accvgpr_write_b32 a41, v231
	;; [unrolled: 4-line block ×3, first 2 shown]
	s_waitcnt lgkmcnt(3)
	v_mfma_f32_16x16x32_f16 a[216:219], v[30:33], v[34:37], a[36:39]
	v_accvgpr_write_b32 a54, v240
	v_accvgpr_write_b32 a55, v241
	v_accvgpr_write_b32 a57, v243
	v_accvgpr_write_b32 a36, v146
	v_accvgpr_write_b32 a37, v147
	v_accvgpr_write_b32 a38, v148
	v_accvgpr_write_b32 a39, v149
	v_accvgpr_write_b32 a58, v244
	v_accvgpr_write_b32 a59, v245
	v_mfma_f32_16x16x32_f16 a[220:223], v[30:33], v[86:89], a[36:39]
	v_accvgpr_write_b32 a61, v247
	v_accvgpr_write_b32 a62, v248
	v_accvgpr_write_b32 a63, v249
	v_accvgpr_write_b32 a36, v210
	v_accvgpr_write_b32 a37, v211
	v_accvgpr_write_b32 a38, v212
	v_accvgpr_write_b32 a39, v213
	v_accvgpr_write_b32 a65, v251
	v_accvgpr_write_b32 a66, v252
	;; [unrolled: 10-line block ×3, first 2 shown]
	v_mfma_f32_16x16x32_f16 a[236:239], v[30:33], v[90:93], a[36:39]
	v_accvgpr_write_b32 a78, v112
	v_accvgpr_write_b32 a79, v113
	;; [unrolled: 1-line block ×7, first 2 shown]
	v_mfma_f32_16x16x32_f16 a[244:247], v[30:33], v[46:49], a[104:107]
	v_accvgpr_write_b32 a82, v116
	v_accvgpr_write_b32 a83, v117
	;; [unrolled: 1-line block ×3, first 2 shown]
	v_mfma_f32_16x16x32_f16 a[240:243], v[30:33], v[42:45], a[36:39]
	v_accvgpr_write_b32 a86, v120
	v_accvgpr_write_b32 a87, v121
	;; [unrolled: 1-line block ×9, first 2 shown]
	v_mfma_f32_16x16x32_f16 a[36:39], v[30:33], v[98:101], a[36:39]
	v_accvgpr_write_b32 a93, v153
	v_accvgpr_write_b32 a94, v154
	;; [unrolled: 1-line block ×6, first 2 shown]
	s_waitcnt lgkmcnt(0)
	s_barrier
	v_accvgpr_read_b32 v69, a39
	v_accvgpr_read_b32 v68, a38
	;; [unrolled: 1-line block ×4, first 2 shown]
	v_accvgpr_write_b32 a36, v226
	v_accvgpr_write_b32 a37, v227
	;; [unrolled: 1-line block ×4, first 2 shown]
	; sched_group_barrier mask(0x00000100) size(1) SyncID(0)
	; sched_group_barrier mask(0x00000008) size(4) SyncID(0)
	;; [unrolled: 1-line block ×7, first 2 shown]
	s_nop 1
	v_mfma_f32_16x16x32_f16 a[248:251], v[30:33], v[62:65], a[36:39]
	; sched_group_barrier mask(0x00000008) size(4) SyncID(0)
	; sched_group_barrier mask(0x00000100) size(1) SyncID(0)
	v_mfma_f32_16x16x32_f16 a[44:47], v[26:29], v[38:41], a[48:51]
	s_nop 1
	v_accvgpr_write_b32 a36, v206
	v_accvgpr_write_b32 a37, v207
	;; [unrolled: 1-line block ×8, first 2 shown]
	v_mfma_f32_16x16x32_f16 a[36:39], v[26:29], v[34:37], a[36:39]
	v_mfma_f32_16x16x32_f16 a[40:43], v[26:29], v[86:89], a[40:43]
	v_mfma_f32_16x16x32_f16 a[48:51], v[26:29], v[90:93], a[48:51]
	; sched_group_barrier mask(0x00000008) size(4) SyncID(0)
	; sched_group_barrier mask(0x00000100) size(1) SyncID(0)
	v_mfma_f32_16x16x32_f16 a[52:55], v[26:29], v[42:45], a[52:55]
	v_mfma_f32_16x16x32_f16 a[56:59], v[26:29], v[98:101], a[56:59]
	v_mfma_f32_16x16x32_f16 a[60:63], v[26:29], v[46:49], a[60:63]
	v_mfma_f32_16x16x32_f16 a[64:67], v[26:29], v[62:65], a[64:67]
	; sched_group_barrier mask(0x00000008) size(4) SyncID(0)
	; sched_group_barrier mask(0x00000100) size(1) SyncID(0)
	v_mfma_f32_16x16x32_f16 a[68:71], v[14:17], v[34:37], a[68:71]
	;; [unrolled: 6-line block ×5, first 2 shown]
	s_nop 2
	v_accvgpr_write_b32 a32, v58
	v_accvgpr_write_b32 a33, v59
	;; [unrolled: 1-line block ×4, first 2 shown]
	v_mfma_f32_16x16x32_f16 a[116:119], v[22:25], v[42:45], a[116:119]
	v_mfma_f32_16x16x32_f16 a[196:199], v[22:25], v[98:101], a[196:199]
	v_mfma_f32_16x16x32_f16 a[192:195], v[22:25], v[62:65], a[192:195]
	; sched_group_barrier mask(0x00000008) size(4) SyncID(0)
	; sched_group_barrier mask(0x00000100) size(1) SyncID(0)
	v_mfma_f32_16x16x32_f16 a[204:207], v[10:13], v[34:37], a[204:207]
	v_mfma_f32_16x16x32_f16 a[200:203], v[10:13], v[86:89], a[200:203]
	v_mfma_f32_16x16x32_f16 a[176:179], v[10:13], v[38:41], a[176:179]
	v_mfma_f32_16x16x32_f16 a[172:175], v[10:13], v[90:93], a[172:175]
	; sched_group_barrier mask(0x00000008) size(4) SyncID(0)
	; sched_group_barrier mask(0x00000100) size(1) SyncID(0)
	v_mfma_f32_16x16x32_f16 a[120:123], v[10:13], v[42:45], a[120:123]
	;; [unrolled: 6-line block ×3, first 2 shown]
	s_nop 2
	v_accvgpr_write_b32 a32, v160
	v_accvgpr_write_b32 a33, v161
	;; [unrolled: 1-line block ×4, first 2 shown]
	v_mfma_f32_16x16x32_f16 a[136:139], v[6:9], v[34:37], a[136:139]
	v_mfma_f32_16x16x32_f16 a[140:143], v[6:9], v[86:89], a[140:143]
	v_mfma_f32_16x16x32_f16 a[144:147], v[6:9], v[38:41], a[144:147]
	; sched_group_barrier mask(0x00000008) size(4) SyncID(0)
	; sched_group_barrier mask(0x00000100) size(1) SyncID(0)
	v_mfma_f32_16x16x32_f16 a[152:155], v[6:9], v[42:45], a[152:155]
	v_mfma_f32_16x16x32_f16 a[156:159], v[6:9], v[98:101], a[32:35]
	v_mfma_f32_16x16x32_f16 a[160:163], v[6:9], v[46:49], a[160:163]
	v_mfma_f32_16x16x32_f16 a[164:167], v[6:9], v[62:65], a[164:167]
	; sched_group_barrier mask(0x00000008) size(4) SyncID(0)
	; sched_group_barrier mask(0x00000100) size(1) SyncID(0)
	v_mfma_f32_16x16x32_f16 a[168:171], v[2:5], v[34:37], a[168:171]
	;; [unrolled: 6-line block ×3, first 2 shown]
	v_mfma_f32_16x16x32_f16 a[224:227], v[2:5], v[98:101], a[224:227]
	v_mfma_f32_16x16x32_f16 a[228:231], v[2:5], v[46:49], a[228:231]
	;; [unrolled: 1-line block ×3, first 2 shown]
	; sched_group_barrier mask(0x00000008) size(4) SyncID(0)
	; sched_barrier mask(0x00000000)
	v_mfma_f32_16x16x32_f16 a[216:219], v[30:33], v[34:37], a[216:219]
	v_mfma_f32_16x16x32_f16 a[32:35], v[18:21], v[62:65], a[252:255]
	v_mfma_f32_16x16x32_f16 a[252:255], v[30:33], v[90:93], a[236:239]
	s_nop 5
	v_accvgpr_read_b32 v50, a216
	v_accvgpr_read_b32 v51, a217
	;; [unrolled: 1-line block ×4, first 2 shown]
	v_mfma_f32_16x16x32_f16 a[216:219], v[30:33], v[86:89], a[220:223]
	v_mfma_f32_16x16x32_f16 a[236:239], v[30:33], v[42:45], a[240:243]
	v_mfma_f32_16x16x32_f16 a[240:243], v[26:29], v[42:45], a[52:55]
	s_nop 5
	v_accvgpr_read_b32 v54, a216
	v_accvgpr_read_b32 v55, a217
	v_accvgpr_read_b32 v56, a218
	v_mfma_f32_16x16x32_f16 a[52:55], v[26:29], v[46:49], a[60:63]
	v_accvgpr_read_b32 v57, a219
	v_mfma_f32_16x16x32_f16 a[60:63], v[14:17], v[86:89], a[72:75]
	v_mfma_f32_16x16x32_f16 a[216:219], v[30:33], v[38:41], a[232:235]
	;; [unrolled: 1-line block ×4, first 2 shown]
	s_nop 5
	v_accvgpr_read_b32 v58, a216
	v_accvgpr_read_b32 v59, a217
	;; [unrolled: 1-line block ×3, first 2 shown]
	v_mfma_f32_16x16x32_f16 a[8:11], v[18:21], v[38:41], a[8:11]
	v_accvgpr_read_b32 v61, a219
	v_accvgpr_write_b32 a219, v69
	v_accvgpr_write_b32 a218, v68
	v_mfma_f32_16x16x32_f16 a[12:15], v[18:21], v[90:93], a[12:15]
	v_accvgpr_write_b32 a217, v67
	v_accvgpr_write_b32 a216, v66
	v_mfma_f32_16x16x32_f16 a[16:19], v[18:21], v[42:45], a[16:19]
	v_mfma_f32_16x16x32_f16 a[24:27], v[18:21], v[98:101], a[24:27]
	;; [unrolled: 1-line block ×3, first 2 shown]
	v_accvgpr_read_b32 v18, a60
	v_accvgpr_read_b32 v19, a61
	v_accvgpr_read_b32 v20, a62
	v_accvgpr_read_b32 v21, a63
	v_mfma_f32_16x16x32_f16 a[60:63], v[14:17], v[38:41], a[76:79]
	v_mfma_f32_16x16x32_f16 a[232:235], v[30:33], v[98:101], a[216:219]
	v_mfma_f32_16x16x32_f16 a[216:219], v[30:33], v[46:49], a[244:247]
	v_mfma_f32_16x16x32_f16 a[244:247], v[26:29], v[34:37], a[36:39]
	v_mfma_f32_16x16x32_f16 a[36:39], v[26:29], v[86:89], a[40:43]
	v_mfma_f32_16x16x32_f16 a[40:43], v[26:29], v[38:41], a[44:47]
	v_mfma_f32_16x16x32_f16 a[44:47], v[26:29], v[90:93], a[48:51]
	v_mfma_f32_16x16x32_f16 a[48:51], v[26:29], v[98:101], a[56:59]
	v_mfma_f32_16x16x32_f16 a[56:59], v[26:29], v[62:65], a[64:67]
	v_accvgpr_read_b32 v26, a60
	v_accvgpr_read_b32 v27, a61
	;; [unrolled: 1-line block ×3, first 2 shown]
	v_mfma_f32_16x16x32_f16 a[220:223], v[30:33], v[62:65], a[248:251]
	v_accvgpr_read_b32 v29, a63
	v_mfma_f32_16x16x32_f16 a[248:251], v[14:17], v[34:37], a[68:71]
	v_mfma_f32_16x16x32_f16 a[76:79], v[14:17], v[90:93], a[80:83]
	;; [unrolled: 1-line block ×38, first 2 shown]
	; sched_group_barrier mask(0x00000008) size(64) SyncID(0)
	; sched_barrier mask(0x00000000)
	scratch_load_dword v0, off, off offset:132 ; 4-byte Folded Reload
	s_waitcnt lgkmcnt(0)
	s_barrier
	scratch_load_dword v6, off, off offset:136 ; 4-byte Folded Reload
	v_accvgpr_read_b32 v7, a3
	v_cvt_f16_f32_e32 v7, v7
	s_and_b32 s5, s5, 0xffff
	s_mov_b32 s7, 0x20000
	s_waitcnt vmcnt(1)
	v_lshrrev_b32_e32 v1, 2, v0
	v_lshrrev_b32_e32 v4, 3, v0
	v_and_b32_e32 v1, 12, v1
	v_and_or_b32 v1, v4, 16, v1
	v_lshlrev_b32_e32 v2, 2, v0
	v_lshrrev_b32_e32 v0, 1, v0
	v_and_b32_e32 v5, 28, v2
	v_and_b32_e32 v0, 32, v0
	v_lshlrev_b32_e32 v1, 6, v1
	s_waitcnt vmcnt(0)
	v_lshlrev_b32_e32 v6, 1, v6
	v_lshl_or_b32 v2, s2, 8, v5
	v_lshl_or_b32 v3, s0, 8, v4
	v_or3_b32 v0, v0, v1, v6
	v_accvgpr_read_b32 v1, a1
	v_mad_u64_u32 v[2:3], s[2:3], v3, s29, v[2:3]
	v_cvt_f16_f32_e32 v1, v1
	v_accvgpr_read_b32 v3, a0
	v_accvgpr_read_b32 v6, a2
	v_cvt_f16_f32_e32 v3, v3
	v_cvt_f16_f32_e32 v6, v6
	ds_write_b16 v0, v1 offset:64
	v_lshlrev_b32_e32 v1, 1, v5
	v_lshl_or_b32 v1, v4, 6, v1
	ds_write_b16 v0, v3
	ds_write_b16 v0, v6 offset:128
	ds_write_b16 v0, v7 offset:192
	s_waitcnt lgkmcnt(0)
	s_barrier
	ds_read_b64 v[4:5], v1
	s_add_i32 s0, s9, s1
	s_lshl_b32 s6, s0, 1
	v_lshlrev_b32_e32 v3, 1, v2
	v_accvgpr_read_b32 v6, a6
	s_waitcnt lgkmcnt(0)
	buffer_store_dwordx2 v[4:5], v3, s[4:7], 0 offen
	v_accvgpr_read_b32 v4, a4
	v_accvgpr_read_b32 v5, a5
	;; [unrolled: 1-line block ×3, first 2 shown]
	v_cvt_f16_f32_e32 v4, v4
	v_cvt_f16_f32_e32 v5, v5
	;; [unrolled: 1-line block ×4, first 2 shown]
	s_waitcnt lgkmcnt(0)
	s_barrier
	ds_write_b16 v0, v4
	ds_write_b16 v0, v5 offset:64
	ds_write_b16 v0, v6 offset:128
	ds_write_b16 v0, v7 offset:192
	s_waitcnt lgkmcnt(0)
	s_barrier
	ds_read_b64 v[4:5], v1
	v_accvgpr_read_b32 v6, a10
	v_accvgpr_read_b32 v7, a11
	v_cvt_f16_f32_e32 v6, v6
	v_cvt_f16_f32_e32 v7, v7
	s_waitcnt lgkmcnt(0)
	buffer_store_dwordx2 v[4:5], v3, s[4:7], 0 offen offset:64
	v_accvgpr_read_b32 v4, a8
	v_accvgpr_read_b32 v5, a9
	v_cvt_f16_f32_e32 v4, v4
	v_cvt_f16_f32_e32 v5, v5
	s_waitcnt lgkmcnt(0)
	s_barrier
	ds_write_b16 v0, v4
	ds_write_b16 v0, v5 offset:64
	ds_write_b16 v0, v6 offset:128
	ds_write_b16 v0, v7 offset:192
	s_waitcnt lgkmcnt(0)
	s_barrier
	ds_read_b64 v[4:5], v1
	v_accvgpr_read_b32 v6, a14
	v_accvgpr_read_b32 v7, a15
	v_cvt_f16_f32_e32 v6, v6
	v_cvt_f16_f32_e32 v7, v7
	s_waitcnt lgkmcnt(0)
	buffer_store_dwordx2 v[4:5], v3, s[4:7], 0 offen offset:128
	v_accvgpr_read_b32 v4, a12
	v_accvgpr_read_b32 v5, a13
	v_cvt_f16_f32_e32 v4, v4
	v_cvt_f16_f32_e32 v5, v5
	;; [unrolled: 19-line block ×5, first 2 shown]
	s_waitcnt lgkmcnt(0)
	s_barrier
	ds_write_b16 v0, v4
	ds_write_b16 v0, v5 offset:64
	ds_write_b16 v0, v6 offset:128
	;; [unrolled: 1-line block ×3, first 2 shown]
	s_waitcnt lgkmcnt(0)
	s_barrier
	ds_read_b64 v[4:5], v1
	v_accvgpr_read_b32 v6, a35
	v_cvt_f16_f32_e32 v6, v6
	v_accvgpr_read_b32 v7, a223
	v_cvt_f16_f32_e32 v7, v7
	s_waitcnt lgkmcnt(0)
	buffer_store_dwordx2 v[4:5], v3, s[4:7], 0 offen offset:384
	v_accvgpr_read_b32 v3, a32
	v_accvgpr_read_b32 v4, a33
	v_accvgpr_read_b32 v5, a34
	v_cvt_f16_f32_e32 v3, v3
	v_cvt_f16_f32_e32 v4, v4
	;; [unrolled: 1-line block ×3, first 2 shown]
	s_waitcnt lgkmcnt(0)
	s_barrier
	ds_write_b16 v0, v3
	ds_write_b16 v0, v4 offset:64
	ds_write_b16 v0, v5 offset:128
	;; [unrolled: 1-line block ×3, first 2 shown]
	s_waitcnt lgkmcnt(0)
	s_barrier
	ds_read_b64 v[4:5], v1
	v_add_u32_e32 v3, 0xe0, v2
	v_lshlrev_b32_e32 v6, 1, v3
	s_lshl_b32 s0, s29, 5
	v_add_lshl_u32 v3, v3, s0, 1
	s_waitcnt lgkmcnt(0)
	buffer_store_dwordx2 v[4:5], v6, s[4:7], 0 offen
	v_accvgpr_read_b32 v4, a220
	v_accvgpr_read_b32 v5, a221
	;; [unrolled: 1-line block ×3, first 2 shown]
	v_cvt_f16_f32_e32 v4, v4
	v_cvt_f16_f32_e32 v5, v5
	v_cvt_f16_f32_e32 v6, v6
	s_waitcnt lgkmcnt(0)
	s_barrier
	ds_write_b16 v0, v4
	ds_write_b16 v0, v5 offset:64
	ds_write_b16 v0, v6 offset:128
	;; [unrolled: 1-line block ×3, first 2 shown]
	s_waitcnt lgkmcnt(0)
	s_barrier
	ds_read_b64 v[4:5], v1
	v_accvgpr_read_b32 v6, a218
	v_accvgpr_read_b32 v7, a219
	v_cvt_f16_f32_e32 v6, v6
	v_cvt_f16_f32_e32 v7, v7
	s_waitcnt lgkmcnt(0)
	buffer_store_dwordx2 v[4:5], v3, s[4:7], 0 offen
	v_accvgpr_read_b32 v4, a216
	v_accvgpr_read_b32 v5, a217
	v_cvt_f16_f32_e32 v4, v4
	v_cvt_f16_f32_e32 v5, v5
	s_waitcnt lgkmcnt(0)
	s_barrier
	ds_write_b16 v0, v4
	ds_write_b16 v0, v5 offset:64
	ds_write_b16 v0, v6 offset:128
	;; [unrolled: 1-line block ×3, first 2 shown]
	s_waitcnt lgkmcnt(0)
	s_barrier
	ds_read_b64 v[4:5], v1
	v_subrev_u32_e32 v6, 64, v3
	v_accvgpr_read_b32 v7, a235
	v_cvt_f16_f32_e32 v7, v7
	s_waitcnt lgkmcnt(0)
	buffer_store_dwordx2 v[4:5], v6, s[4:7], 0 offen
	v_accvgpr_read_b32 v4, a232
	v_accvgpr_read_b32 v5, a233
	v_accvgpr_read_b32 v6, a234
	v_cvt_f16_f32_e32 v4, v4
	v_cvt_f16_f32_e32 v5, v5
	v_cvt_f16_f32_e32 v6, v6
	s_waitcnt lgkmcnt(0)
	s_barrier
	ds_write_b16 v0, v4
	ds_write_b16 v0, v5 offset:64
	ds_write_b16 v0, v6 offset:128
	ds_write_b16 v0, v7 offset:192
	s_waitcnt lgkmcnt(0)
	s_barrier
	ds_read_b64 v[4:5], v1
	v_add_u32_e32 v6, 0xffffff80, v3
	v_accvgpr_read_b32 v7, a239
	v_cvt_f16_f32_e32 v7, v7
	s_waitcnt lgkmcnt(0)
	buffer_store_dwordx2 v[4:5], v6, s[4:7], 0 offen
	v_accvgpr_read_b32 v4, a236
	v_accvgpr_read_b32 v5, a237
	v_accvgpr_read_b32 v6, a238
	v_cvt_f16_f32_e32 v4, v4
	v_cvt_f16_f32_e32 v5, v5
	v_cvt_f16_f32_e32 v6, v6
	s_waitcnt lgkmcnt(0)
	s_barrier
	ds_write_b16 v0, v4
	ds_write_b16 v0, v5 offset:64
	ds_write_b16 v0, v6 offset:128
	ds_write_b16 v0, v7 offset:192
	s_waitcnt lgkmcnt(0)
	s_barrier
	ds_read_b64 v[4:5], v1
	v_add_u32_e32 v6, 0xffffff40, v3
	v_accvgpr_read_b32 v7, a255
	v_cvt_f16_f32_e32 v7, v7
	s_waitcnt lgkmcnt(0)
	buffer_store_dwordx2 v[4:5], v6, s[4:7], 0 offen
	v_accvgpr_read_b32 v4, a252
	v_accvgpr_read_b32 v5, a253
	v_accvgpr_read_b32 v6, a254
	v_cvt_f16_f32_e32 v4, v4
	v_cvt_f16_f32_e32 v5, v5
	v_cvt_f16_f32_e32 v6, v6
	s_waitcnt lgkmcnt(0)
	s_barrier
	ds_write_b16 v0, v4
	ds_write_b16 v0, v5 offset:64
	ds_write_b16 v0, v6 offset:128
	ds_write_b16 v0, v7 offset:192
	s_waitcnt lgkmcnt(0)
	s_barrier
	ds_read_b64 v[4:5], v1
	v_add_u32_e32 v6, 0xffffff00, v3
	s_waitcnt lgkmcnt(0)
	buffer_store_dwordx2 v[4:5], v6, s[4:7], 0 offen
	v_mov_b64_e32 v[4:5], v[58:59]
	v_mov_b64_e32 v[6:7], v[60:61]
	v_cvt_f16_f32_e32 v4, v4
	v_cvt_f16_f32_e32 v5, v5
	;; [unrolled: 1-line block ×4, first 2 shown]
	s_waitcnt lgkmcnt(0)
	s_barrier
	ds_write_b16 v0, v4
	ds_write_b16 v0, v5 offset:64
	ds_write_b16 v0, v6 offset:128
	;; [unrolled: 1-line block ×3, first 2 shown]
	s_waitcnt lgkmcnt(0)
	s_barrier
	ds_read_b64 v[4:5], v1
	v_add_u32_e32 v6, 0xfffffec0, v3
	v_add_u32_e32 v3, 0xfffffe80, v3
	s_waitcnt lgkmcnt(0)
	buffer_store_dwordx2 v[4:5], v6, s[4:7], 0 offen
	v_mov_b64_e32 v[4:5], v[54:55]
	v_mov_b64_e32 v[6:7], v[56:57]
	v_cvt_f16_f32_e32 v4, v4
	v_cvt_f16_f32_e32 v5, v5
	;; [unrolled: 1-line block ×4, first 2 shown]
	s_waitcnt lgkmcnt(0)
	s_barrier
	ds_write_b16 v0, v4
	ds_write_b16 v0, v5 offset:64
	ds_write_b16 v0, v6 offset:128
	;; [unrolled: 1-line block ×3, first 2 shown]
	s_waitcnt lgkmcnt(0)
	s_barrier
	ds_read_b64 v[4:5], v1
	s_waitcnt lgkmcnt(0)
	buffer_store_dwordx2 v[4:5], v3, s[4:7], 0 offen
	v_mov_b64_e32 v[4:5], v[50:51]
	v_mov_b64_e32 v[6:7], v[52:53]
	v_mov_b32_e32 v3, v4
	v_mov_b32_e32 v4, v5
	;; [unrolled: 1-line block ×4, first 2 shown]
	v_cvt_f16_f32_e32 v3, v3
	v_cvt_f16_f32_e32 v4, v4
	;; [unrolled: 1-line block ×4, first 2 shown]
	s_waitcnt lgkmcnt(0)
	s_barrier
	ds_write_b16 v0, v3
	ds_write_b16 v0, v4 offset:64
	ds_write_b16 v0, v5 offset:128
	;; [unrolled: 1-line block ×3, first 2 shown]
	s_waitcnt lgkmcnt(0)
	s_barrier
	ds_read_b64 v[4:5], v1
	v_add_u32_e32 v6, s0, v2
	v_lshlrev_b32_e32 v2, 1, v6
	v_accvgpr_read_b32 v3, a245
	v_cvt_f16_f32_e32 v3, v3
	s_waitcnt lgkmcnt(0)
	buffer_store_dwordx2 v[4:5], v2, s[4:7], 0 offen
	v_accvgpr_read_b32 v2, a244
	v_accvgpr_read_b32 v4, a246
	;; [unrolled: 1-line block ×3, first 2 shown]
	v_cvt_f16_f32_e32 v2, v2
	v_cvt_f16_f32_e32 v4, v4
	;; [unrolled: 1-line block ×3, first 2 shown]
	s_waitcnt lgkmcnt(0)
	s_barrier
	ds_write_b16 v0, v2
	ds_write_b16 v0, v3 offset:64
	ds_write_b16 v0, v4 offset:128
	;; [unrolled: 1-line block ×3, first 2 shown]
	s_waitcnt lgkmcnt(0)
	s_barrier
	ds_read_b64 v[2:3], v1
	v_add_u32_e32 v4, s0, v6
	v_lshlrev_b32_e32 v5, 1, v4
	v_accvgpr_read_b32 v6, a38
	v_accvgpr_read_b32 v7, a39
	s_waitcnt lgkmcnt(0)
	buffer_store_dwordx2 v[2:3], v5, s[4:7], 0 offen
	v_accvgpr_read_b32 v2, a36
	v_accvgpr_read_b32 v3, a37
	v_cvt_f16_f32_e32 v2, v2
	v_cvt_f16_f32_e32 v3, v3
	v_cvt_f16_f32_e32 v6, v6
	v_cvt_f16_f32_e32 v7, v7
	s_waitcnt lgkmcnt(0)
	s_barrier
	ds_write_b16 v0, v2
	ds_write_b16 v0, v3 offset:64
	ds_write_b16 v0, v6 offset:128
	ds_write_b16 v0, v7 offset:192
	s_waitcnt lgkmcnt(0)
	s_barrier
	ds_read_b64 v[2:3], v1
	v_accvgpr_read_b32 v6, a42
	v_accvgpr_read_b32 v7, a43
	v_cvt_f16_f32_e32 v6, v6
	v_cvt_f16_f32_e32 v7, v7
	s_waitcnt lgkmcnt(0)
	buffer_store_dwordx2 v[2:3], v5, s[4:7], 0 offen offset:64
	v_accvgpr_read_b32 v2, a40
	v_accvgpr_read_b32 v3, a41
	v_cvt_f16_f32_e32 v2, v2
	v_cvt_f16_f32_e32 v3, v3
	s_waitcnt lgkmcnt(0)
	s_barrier
	ds_write_b16 v0, v2
	ds_write_b16 v0, v3 offset:64
	ds_write_b16 v0, v6 offset:128
	ds_write_b16 v0, v7 offset:192
	s_waitcnt lgkmcnt(0)
	s_barrier
	ds_read_b64 v[2:3], v1
	v_accvgpr_read_b32 v6, a46
	v_accvgpr_read_b32 v7, a47
	v_cvt_f16_f32_e32 v6, v6
	v_cvt_f16_f32_e32 v7, v7
	s_waitcnt lgkmcnt(0)
	buffer_store_dwordx2 v[2:3], v5, s[4:7], 0 offen offset:128
	v_accvgpr_read_b32 v2, a44
	v_accvgpr_read_b32 v3, a45
	v_cvt_f16_f32_e32 v2, v2
	v_cvt_f16_f32_e32 v3, v3
	;; [unrolled: 19-line block ×5, first 2 shown]
	s_waitcnt lgkmcnt(0)
	s_barrier
	ds_write_b16 v0, v2
	ds_write_b16 v0, v3 offset:64
	ds_write_b16 v0, v6 offset:128
	;; [unrolled: 1-line block ×3, first 2 shown]
	s_waitcnt lgkmcnt(0)
	s_barrier
	ds_read_b64 v[2:3], v1
	v_accvgpr_read_b32 v6, a59
	v_cvt_f16_f32_e32 v6, v6
	v_accvgpr_read_b32 v7, a63
	v_cvt_f16_f32_e32 v7, v7
	s_waitcnt lgkmcnt(0)
	buffer_store_dwordx2 v[2:3], v5, s[4:7], 0 offen offset:384
	v_accvgpr_read_b32 v2, a56
	v_accvgpr_read_b32 v3, a57
	;; [unrolled: 1-line block ×3, first 2 shown]
	v_cvt_f16_f32_e32 v2, v2
	v_cvt_f16_f32_e32 v3, v3
	;; [unrolled: 1-line block ×3, first 2 shown]
	s_waitcnt lgkmcnt(0)
	s_barrier
	ds_write_b16 v0, v2
	ds_write_b16 v0, v3 offset:64
	ds_write_b16 v0, v5 offset:128
	;; [unrolled: 1-line block ×3, first 2 shown]
	s_waitcnt lgkmcnt(0)
	s_barrier
	ds_read_b64 v[2:3], v1
	v_add_u32_e32 v5, 0xe0, v4
	v_lshlrev_b32_e32 v6, 1, v5
	v_add_lshl_u32 v5, v5, s0, 1
	v_add_u32_e32 v4, s0, v4
	s_waitcnt lgkmcnt(0)
	buffer_store_dwordx2 v[2:3], v6, s[4:7], 0 offen
	v_accvgpr_read_b32 v2, a60
	v_accvgpr_read_b32 v3, a61
	;; [unrolled: 1-line block ×3, first 2 shown]
	v_cvt_f16_f32_e32 v2, v2
	v_cvt_f16_f32_e32 v3, v3
	;; [unrolled: 1-line block ×3, first 2 shown]
	s_waitcnt lgkmcnt(0)
	s_barrier
	ds_write_b16 v0, v2
	ds_write_b16 v0, v3 offset:64
	ds_write_b16 v0, v6 offset:128
	;; [unrolled: 1-line block ×3, first 2 shown]
	s_waitcnt lgkmcnt(0)
	s_barrier
	ds_read_b64 v[2:3], v1
	v_accvgpr_read_b32 v6, a66
	v_accvgpr_read_b32 v7, a67
	v_cvt_f16_f32_e32 v6, v6
	v_cvt_f16_f32_e32 v7, v7
	s_waitcnt lgkmcnt(0)
	buffer_store_dwordx2 v[2:3], v5, s[4:7], 0 offen
	v_accvgpr_read_b32 v2, a64
	v_accvgpr_read_b32 v3, a65
	v_cvt_f16_f32_e32 v2, v2
	v_cvt_f16_f32_e32 v3, v3
	s_waitcnt lgkmcnt(0)
	s_barrier
	ds_write_b16 v0, v2
	ds_write_b16 v0, v3 offset:64
	ds_write_b16 v0, v6 offset:128
	ds_write_b16 v0, v7 offset:192
	s_waitcnt lgkmcnt(0)
	s_barrier
	ds_read_b64 v[2:3], v1
	v_subrev_u32_e32 v6, 64, v5
	v_accvgpr_read_b32 v7, a71
	v_cvt_f16_f32_e32 v7, v7
	s_waitcnt lgkmcnt(0)
	buffer_store_dwordx2 v[2:3], v6, s[4:7], 0 offen
	v_accvgpr_read_b32 v2, a68
	v_accvgpr_read_b32 v3, a69
	v_accvgpr_read_b32 v6, a70
	v_cvt_f16_f32_e32 v2, v2
	v_cvt_f16_f32_e32 v3, v3
	v_cvt_f16_f32_e32 v6, v6
	s_waitcnt lgkmcnt(0)
	s_barrier
	ds_write_b16 v0, v2
	ds_write_b16 v0, v3 offset:64
	ds_write_b16 v0, v6 offset:128
	ds_write_b16 v0, v7 offset:192
	s_waitcnt lgkmcnt(0)
	s_barrier
	ds_read_b64 v[2:3], v1
	v_add_u32_e32 v6, 0xffffff80, v5
	v_accvgpr_read_b32 v7, a75
	v_cvt_f16_f32_e32 v7, v7
	s_waitcnt lgkmcnt(0)
	buffer_store_dwordx2 v[2:3], v6, s[4:7], 0 offen
	v_accvgpr_read_b32 v2, a72
	v_accvgpr_read_b32 v3, a73
	v_accvgpr_read_b32 v6, a74
	v_cvt_f16_f32_e32 v2, v2
	v_cvt_f16_f32_e32 v3, v3
	v_cvt_f16_f32_e32 v6, v6
	s_waitcnt lgkmcnt(0)
	s_barrier
	ds_write_b16 v0, v2
	ds_write_b16 v0, v3 offset:64
	ds_write_b16 v0, v6 offset:128
	ds_write_b16 v0, v7 offset:192
	s_waitcnt lgkmcnt(0)
	s_barrier
	ds_read_b64 v[2:3], v1
	v_add_u32_e32 v6, 0xffffff40, v5
	;; [unrolled: 20-line block ×3, first 2 shown]
	s_waitcnt lgkmcnt(0)
	buffer_store_dwordx2 v[2:3], v6, s[4:7], 0 offen
	v_mov_b64_e32 v[6:7], v[26:27]
	v_mov_b64_e32 v[8:9], v[28:29]
	v_mov_b32_e32 v2, v6
	v_mov_b32_e32 v3, v7
	;; [unrolled: 1-line block ×4, first 2 shown]
	v_cvt_f16_f32_e32 v2, v2
	v_cvt_f16_f32_e32 v3, v3
	;; [unrolled: 1-line block ×4, first 2 shown]
	s_waitcnt lgkmcnt(0)
	s_barrier
	ds_write_b16 v0, v2
	ds_write_b16 v0, v3 offset:64
	ds_write_b16 v0, v6 offset:128
	;; [unrolled: 1-line block ×3, first 2 shown]
	s_waitcnt lgkmcnt(0)
	s_barrier
	ds_read_b64 v[2:3], v1
	v_add_u32_e32 v6, 0xfffffec0, v5
	v_add_u32_e32 v5, 0xfffffe80, v5
	s_waitcnt lgkmcnt(0)
	buffer_store_dwordx2 v[2:3], v6, s[4:7], 0 offen
	v_mov_b64_e32 v[6:7], v[18:19]
	v_mov_b64_e32 v[8:9], v[20:21]
	v_mov_b32_e32 v2, v6
	v_mov_b32_e32 v3, v7
	;; [unrolled: 1-line block ×4, first 2 shown]
	v_cvt_f16_f32_e32 v2, v2
	v_cvt_f16_f32_e32 v3, v3
	;; [unrolled: 1-line block ×4, first 2 shown]
	s_waitcnt lgkmcnt(0)
	s_barrier
	ds_write_b16 v0, v2
	ds_write_b16 v0, v3 offset:64
	ds_write_b16 v0, v6 offset:128
	;; [unrolled: 1-line block ×3, first 2 shown]
	s_waitcnt lgkmcnt(0)
	s_barrier
	ds_read_b64 v[2:3], v1
	v_accvgpr_read_b32 v6, a251
	v_cvt_f16_f32_e32 v6, v6
	v_accvgpr_read_b32 v7, a87
	v_cvt_f16_f32_e32 v7, v7
	s_waitcnt lgkmcnt(0)
	buffer_store_dwordx2 v[2:3], v5, s[4:7], 0 offen
	v_accvgpr_read_b32 v2, a248
	v_accvgpr_read_b32 v3, a249
	;; [unrolled: 1-line block ×3, first 2 shown]
	v_cvt_f16_f32_e32 v2, v2
	v_cvt_f16_f32_e32 v3, v3
	;; [unrolled: 1-line block ×3, first 2 shown]
	s_waitcnt lgkmcnt(0)
	s_barrier
	ds_write_b16 v0, v2
	ds_write_b16 v0, v3 offset:64
	ds_write_b16 v0, v5 offset:128
	;; [unrolled: 1-line block ×3, first 2 shown]
	s_waitcnt lgkmcnt(0)
	s_barrier
	ds_read_b64 v[2:3], v1
	v_lshlrev_b32_e32 v5, 1, v4
	v_accvgpr_read_b32 v6, a83
	v_cvt_f16_f32_e32 v6, v6
	v_add_u32_e32 v4, s0, v4
	s_waitcnt lgkmcnt(0)
	buffer_store_dwordx2 v[2:3], v5, s[4:7], 0 offen
	v_accvgpr_read_b32 v2, a80
	v_accvgpr_read_b32 v3, a81
	;; [unrolled: 1-line block ×3, first 2 shown]
	v_cvt_f16_f32_e32 v2, v2
	v_cvt_f16_f32_e32 v3, v3
	;; [unrolled: 1-line block ×3, first 2 shown]
	s_waitcnt lgkmcnt(0)
	s_barrier
	ds_write_b16 v0, v2
	ds_write_b16 v0, v3 offset:64
	ds_write_b16 v0, v5 offset:128
	;; [unrolled: 1-line block ×3, first 2 shown]
	s_waitcnt lgkmcnt(0)
	s_barrier
	ds_read_b64 v[2:3], v1
	v_lshlrev_b32_e32 v5, 1, v4
	v_accvgpr_read_b32 v6, a86
	v_cvt_f16_f32_e32 v6, v6
	s_waitcnt lgkmcnt(0)
	buffer_store_dwordx2 v[2:3], v5, s[4:7], 0 offen
	v_accvgpr_read_b32 v2, a84
	v_accvgpr_read_b32 v3, a85
	v_cvt_f16_f32_e32 v2, v2
	v_cvt_f16_f32_e32 v3, v3
	s_waitcnt lgkmcnt(0)
	s_barrier
	ds_write_b16 v0, v2
	ds_write_b16 v0, v3 offset:64
	ds_write_b16 v0, v6 offset:128
	ds_write_b16 v0, v7 offset:192
	s_waitcnt lgkmcnt(0)
	s_barrier
	ds_read_b64 v[2:3], v1
	v_accvgpr_read_b32 v6, a90
	v_accvgpr_read_b32 v7, a91
	v_cvt_f16_f32_e32 v6, v6
	v_cvt_f16_f32_e32 v7, v7
	s_waitcnt lgkmcnt(0)
	buffer_store_dwordx2 v[2:3], v5, s[4:7], 0 offen offset:64
	v_accvgpr_read_b32 v2, a88
	v_accvgpr_read_b32 v3, a89
	v_cvt_f16_f32_e32 v2, v2
	v_cvt_f16_f32_e32 v3, v3
	s_waitcnt lgkmcnt(0)
	s_barrier
	ds_write_b16 v0, v2
	ds_write_b16 v0, v3 offset:64
	ds_write_b16 v0, v6 offset:128
	ds_write_b16 v0, v7 offset:192
	s_waitcnt lgkmcnt(0)
	s_barrier
	ds_read_b64 v[2:3], v1
	v_accvgpr_read_b32 v6, a114
	v_accvgpr_read_b32 v7, a115
	v_cvt_f16_f32_e32 v6, v6
	v_cvt_f16_f32_e32 v7, v7
	s_waitcnt lgkmcnt(0)
	buffer_store_dwordx2 v[2:3], v5, s[4:7], 0 offen offset:128
	;; [unrolled: 19-line block ×5, first 2 shown]
	v_accvgpr_read_b32 v2, a100
	v_accvgpr_read_b32 v3, a101
	v_cvt_f16_f32_e32 v2, v2
	v_cvt_f16_f32_e32 v3, v3
	s_waitcnt lgkmcnt(0)
	s_barrier
	ds_write_b16 v0, v2
	ds_write_b16 v0, v3 offset:64
	ds_write_b16 v0, v6 offset:128
	;; [unrolled: 1-line block ×3, first 2 shown]
	s_waitcnt lgkmcnt(0)
	s_barrier
	ds_read_b64 v[2:3], v1
	v_accvgpr_read_b32 v6, a99
	v_cvt_f16_f32_e32 v6, v6
	v_accvgpr_read_b32 v7, a95
	v_cvt_f16_f32_e32 v7, v7
	s_waitcnt lgkmcnt(0)
	buffer_store_dwordx2 v[2:3], v5, s[4:7], 0 offen offset:384
	v_accvgpr_read_b32 v2, a96
	v_accvgpr_read_b32 v3, a97
	;; [unrolled: 1-line block ×3, first 2 shown]
	v_cvt_f16_f32_e32 v2, v2
	v_cvt_f16_f32_e32 v3, v3
	;; [unrolled: 1-line block ×3, first 2 shown]
	s_waitcnt lgkmcnt(0)
	s_barrier
	ds_write_b16 v0, v2
	ds_write_b16 v0, v3 offset:64
	ds_write_b16 v0, v5 offset:128
	;; [unrolled: 1-line block ×3, first 2 shown]
	s_waitcnt lgkmcnt(0)
	s_barrier
	ds_read_b64 v[2:3], v1
	v_add_u32_e32 v5, 0xe0, v4
	v_lshlrev_b32_e32 v6, 1, v5
	v_add_lshl_u32 v5, v5, s0, 1
	v_add_u32_e32 v4, s0, v4
	s_waitcnt lgkmcnt(0)
	buffer_store_dwordx2 v[2:3], v6, s[4:7], 0 offen
	v_accvgpr_read_b32 v2, a92
	v_accvgpr_read_b32 v3, a93
	;; [unrolled: 1-line block ×3, first 2 shown]
	v_cvt_f16_f32_e32 v2, v2
	v_cvt_f16_f32_e32 v3, v3
	;; [unrolled: 1-line block ×3, first 2 shown]
	s_waitcnt lgkmcnt(0)
	s_barrier
	ds_write_b16 v0, v2
	ds_write_b16 v0, v3 offset:64
	ds_write_b16 v0, v6 offset:128
	;; [unrolled: 1-line block ×3, first 2 shown]
	s_waitcnt lgkmcnt(0)
	s_barrier
	ds_read_b64 v[2:3], v1
	v_accvgpr_read_b32 v6, a118
	v_accvgpr_read_b32 v7, a119
	v_cvt_f16_f32_e32 v6, v6
	v_cvt_f16_f32_e32 v7, v7
	s_waitcnt lgkmcnt(0)
	buffer_store_dwordx2 v[2:3], v5, s[4:7], 0 offen
	v_accvgpr_read_b32 v2, a116
	v_accvgpr_read_b32 v3, a117
	v_cvt_f16_f32_e32 v2, v2
	v_cvt_f16_f32_e32 v3, v3
	s_waitcnt lgkmcnt(0)
	s_barrier
	ds_write_b16 v0, v2
	ds_write_b16 v0, v3 offset:64
	ds_write_b16 v0, v6 offset:128
	;; [unrolled: 1-line block ×3, first 2 shown]
	s_waitcnt lgkmcnt(0)
	s_barrier
	ds_read_b64 v[2:3], v1
	v_subrev_u32_e32 v6, 64, v5
	v_accvgpr_read_b32 v7, a123
	v_cvt_f16_f32_e32 v7, v7
	s_waitcnt lgkmcnt(0)
	buffer_store_dwordx2 v[2:3], v6, s[4:7], 0 offen
	v_accvgpr_read_b32 v2, a120
	v_accvgpr_read_b32 v3, a121
	v_accvgpr_read_b32 v6, a122
	v_cvt_f16_f32_e32 v2, v2
	v_cvt_f16_f32_e32 v3, v3
	v_cvt_f16_f32_e32 v6, v6
	s_waitcnt lgkmcnt(0)
	s_barrier
	ds_write_b16 v0, v2
	ds_write_b16 v0, v3 offset:64
	ds_write_b16 v0, v6 offset:128
	ds_write_b16 v0, v7 offset:192
	s_waitcnt lgkmcnt(0)
	s_barrier
	ds_read_b64 v[2:3], v1
	v_add_u32_e32 v6, 0xffffff80, v5
	v_accvgpr_read_b32 v7, a175
	v_cvt_f16_f32_e32 v7, v7
	s_waitcnt lgkmcnt(0)
	buffer_store_dwordx2 v[2:3], v6, s[4:7], 0 offen
	v_accvgpr_read_b32 v2, a172
	v_accvgpr_read_b32 v3, a173
	v_accvgpr_read_b32 v6, a174
	v_cvt_f16_f32_e32 v2, v2
	v_cvt_f16_f32_e32 v3, v3
	v_cvt_f16_f32_e32 v6, v6
	s_waitcnt lgkmcnt(0)
	s_barrier
	ds_write_b16 v0, v2
	ds_write_b16 v0, v3 offset:64
	ds_write_b16 v0, v6 offset:128
	ds_write_b16 v0, v7 offset:192
	s_waitcnt lgkmcnt(0)
	s_barrier
	ds_read_b64 v[2:3], v1
	v_add_u32_e32 v6, 0xffffff40, v5
	v_accvgpr_read_b32 v7, a179
	v_cvt_f16_f32_e32 v7, v7
	s_waitcnt lgkmcnt(0)
	buffer_store_dwordx2 v[2:3], v6, s[4:7], 0 offen
	v_accvgpr_read_b32 v2, a176
	v_accvgpr_read_b32 v3, a177
	v_accvgpr_read_b32 v6, a178
	v_cvt_f16_f32_e32 v2, v2
	v_cvt_f16_f32_e32 v3, v3
	v_cvt_f16_f32_e32 v6, v6
	s_waitcnt lgkmcnt(0)
	s_barrier
	ds_write_b16 v0, v2
	ds_write_b16 v0, v3 offset:64
	ds_write_b16 v0, v6 offset:128
	ds_write_b16 v0, v7 offset:192
	s_waitcnt lgkmcnt(0)
	s_barrier
	ds_read_b64 v[2:3], v1
	v_add_u32_e32 v6, 0xffffff00, v5
	v_accvgpr_read_b32 v7, a195
	v_cvt_f16_f32_e32 v7, v7
	s_waitcnt lgkmcnt(0)
	buffer_store_dwordx2 v[2:3], v6, s[4:7], 0 offen
	v_accvgpr_read_b32 v2, a192
	v_accvgpr_read_b32 v3, a193
	v_accvgpr_read_b32 v6, a194
	v_cvt_f16_f32_e32 v2, v2
	v_cvt_f16_f32_e32 v3, v3
	v_cvt_f16_f32_e32 v6, v6
	s_waitcnt lgkmcnt(0)
	s_barrier
	ds_write_b16 v0, v2
	ds_write_b16 v0, v3 offset:64
	ds_write_b16 v0, v6 offset:128
	ds_write_b16 v0, v7 offset:192
	s_waitcnt lgkmcnt(0)
	s_barrier
	ds_read_b64 v[2:3], v1
	v_add_u32_e32 v6, 0xfffffec0, v5
	v_accvgpr_read_b32 v7, a211
	v_cvt_f16_f32_e32 v7, v7
	v_add_u32_e32 v5, 0xfffffe80, v5
	s_waitcnt lgkmcnt(0)
	buffer_store_dwordx2 v[2:3], v6, s[4:7], 0 offen
	v_accvgpr_read_b32 v2, a208
	v_accvgpr_read_b32 v3, a209
	v_accvgpr_read_b32 v6, a210
	v_cvt_f16_f32_e32 v2, v2
	v_cvt_f16_f32_e32 v3, v3
	;; [unrolled: 1-line block ×3, first 2 shown]
	s_waitcnt lgkmcnt(0)
	s_barrier
	ds_write_b16 v0, v2
	ds_write_b16 v0, v3 offset:64
	ds_write_b16 v0, v6 offset:128
	;; [unrolled: 1-line block ×3, first 2 shown]
	s_waitcnt lgkmcnt(0)
	s_barrier
	ds_read_b64 v[2:3], v1
	v_accvgpr_read_b32 v6, a207
	v_cvt_f16_f32_e32 v6, v6
	v_accvgpr_read_b32 v7, a199
	v_cvt_f16_f32_e32 v7, v7
	s_waitcnt lgkmcnt(0)
	buffer_store_dwordx2 v[2:3], v5, s[4:7], 0 offen
	v_accvgpr_read_b32 v2, a204
	v_accvgpr_read_b32 v3, a205
	;; [unrolled: 1-line block ×3, first 2 shown]
	v_cvt_f16_f32_e32 v2, v2
	v_cvt_f16_f32_e32 v3, v3
	;; [unrolled: 1-line block ×3, first 2 shown]
	s_waitcnt lgkmcnt(0)
	s_barrier
	ds_write_b16 v0, v2
	ds_write_b16 v0, v3 offset:64
	ds_write_b16 v0, v5 offset:128
	;; [unrolled: 1-line block ×3, first 2 shown]
	s_waitcnt lgkmcnt(0)
	s_barrier
	ds_read_b64 v[2:3], v1
	v_lshlrev_b32_e32 v5, 1, v4
	v_accvgpr_read_b32 v6, a203
	v_cvt_f16_f32_e32 v6, v6
	v_add_u32_e32 v4, s0, v4
	s_waitcnt lgkmcnt(0)
	buffer_store_dwordx2 v[2:3], v5, s[4:7], 0 offen
	v_accvgpr_read_b32 v2, a200
	v_accvgpr_read_b32 v3, a201
	;; [unrolled: 1-line block ×3, first 2 shown]
	v_cvt_f16_f32_e32 v2, v2
	v_cvt_f16_f32_e32 v3, v3
	;; [unrolled: 1-line block ×3, first 2 shown]
	s_waitcnt lgkmcnt(0)
	s_barrier
	ds_write_b16 v0, v2
	ds_write_b16 v0, v3 offset:64
	ds_write_b16 v0, v5 offset:128
	;; [unrolled: 1-line block ×3, first 2 shown]
	s_waitcnt lgkmcnt(0)
	s_barrier
	ds_read_b64 v[2:3], v1
	v_lshlrev_b32_e32 v5, 1, v4
	v_accvgpr_read_b32 v6, a198
	v_cvt_f16_f32_e32 v6, v6
	s_waitcnt lgkmcnt(0)
	buffer_store_dwordx2 v[2:3], v5, s[4:7], 0 offen
	v_accvgpr_read_b32 v2, a196
	v_accvgpr_read_b32 v3, a197
	v_cvt_f16_f32_e32 v2, v2
	v_cvt_f16_f32_e32 v3, v3
	s_waitcnt lgkmcnt(0)
	s_barrier
	ds_write_b16 v0, v2
	ds_write_b16 v0, v3 offset:64
	ds_write_b16 v0, v6 offset:128
	ds_write_b16 v0, v7 offset:192
	s_waitcnt lgkmcnt(0)
	s_barrier
	ds_read_b64 v[2:3], v1
	v_accvgpr_read_b32 v6, a134
	v_accvgpr_read_b32 v7, a135
	v_cvt_f16_f32_e32 v6, v6
	v_cvt_f16_f32_e32 v7, v7
	s_waitcnt lgkmcnt(0)
	buffer_store_dwordx2 v[2:3], v5, s[4:7], 0 offen offset:64
	v_accvgpr_read_b32 v2, a132
	v_accvgpr_read_b32 v3, a133
	v_cvt_f16_f32_e32 v2, v2
	v_cvt_f16_f32_e32 v3, v3
	s_waitcnt lgkmcnt(0)
	s_barrier
	ds_write_b16 v0, v2
	ds_write_b16 v0, v3 offset:64
	ds_write_b16 v0, v6 offset:128
	ds_write_b16 v0, v7 offset:192
	s_waitcnt lgkmcnt(0)
	s_barrier
	ds_read_b64 v[2:3], v1
	v_accvgpr_read_b32 v6, a130
	v_accvgpr_read_b32 v7, a131
	v_cvt_f16_f32_e32 v6, v6
	v_cvt_f16_f32_e32 v7, v7
	s_waitcnt lgkmcnt(0)
	buffer_store_dwordx2 v[2:3], v5, s[4:7], 0 offen offset:128
	;; [unrolled: 19-line block ×5, first 2 shown]
	v_accvgpr_read_b32 v2, a152
	v_accvgpr_read_b32 v3, a153
	v_cvt_f16_f32_e32 v2, v2
	v_cvt_f16_f32_e32 v3, v3
	s_waitcnt lgkmcnt(0)
	s_barrier
	ds_write_b16 v0, v2
	ds_write_b16 v0, v3 offset:64
	ds_write_b16 v0, v6 offset:128
	;; [unrolled: 1-line block ×3, first 2 shown]
	s_waitcnt lgkmcnt(0)
	s_barrier
	ds_read_b64 v[2:3], v1
	v_accvgpr_read_b32 v6, a151
	v_cvt_f16_f32_e32 v6, v6
	v_accvgpr_read_b32 v7, a147
	v_cvt_f16_f32_e32 v7, v7
	s_waitcnt lgkmcnt(0)
	buffer_store_dwordx2 v[2:3], v5, s[4:7], 0 offen offset:384
	v_accvgpr_read_b32 v2, a148
	v_accvgpr_read_b32 v3, a149
	;; [unrolled: 1-line block ×3, first 2 shown]
	v_cvt_f16_f32_e32 v2, v2
	v_cvt_f16_f32_e32 v3, v3
	;; [unrolled: 1-line block ×3, first 2 shown]
	s_waitcnt lgkmcnt(0)
	s_barrier
	ds_write_b16 v0, v2
	ds_write_b16 v0, v3 offset:64
	ds_write_b16 v0, v5 offset:128
	;; [unrolled: 1-line block ×3, first 2 shown]
	s_waitcnt lgkmcnt(0)
	s_barrier
	ds_read_b64 v[2:3], v1
	v_add_u32_e32 v5, 0xe0, v4
	v_lshlrev_b32_e32 v6, 1, v5
	v_add_lshl_u32 v5, v5, s0, 1
	s_waitcnt lgkmcnt(0)
	buffer_store_dwordx2 v[2:3], v6, s[4:7], 0 offen
	v_accvgpr_read_b32 v2, a144
	v_accvgpr_read_b32 v3, a145
	;; [unrolled: 1-line block ×3, first 2 shown]
	v_cvt_f16_f32_e32 v2, v2
	v_cvt_f16_f32_e32 v3, v3
	v_cvt_f16_f32_e32 v6, v6
	s_waitcnt lgkmcnt(0)
	s_barrier
	ds_write_b16 v0, v2
	ds_write_b16 v0, v3 offset:64
	ds_write_b16 v0, v6 offset:128
	;; [unrolled: 1-line block ×3, first 2 shown]
	s_waitcnt lgkmcnt(0)
	s_barrier
	ds_read_b64 v[2:3], v1
	v_accvgpr_read_b32 v6, a142
	v_accvgpr_read_b32 v7, a143
	v_cvt_f16_f32_e32 v6, v6
	v_cvt_f16_f32_e32 v7, v7
	s_waitcnt lgkmcnt(0)
	buffer_store_dwordx2 v[2:3], v5, s[4:7], 0 offen
	v_accvgpr_read_b32 v2, a140
	v_accvgpr_read_b32 v3, a141
	v_cvt_f16_f32_e32 v2, v2
	v_cvt_f16_f32_e32 v3, v3
	s_waitcnt lgkmcnt(0)
	s_barrier
	ds_write_b16 v0, v2
	ds_write_b16 v0, v3 offset:64
	ds_write_b16 v0, v6 offset:128
	;; [unrolled: 1-line block ×3, first 2 shown]
	s_waitcnt lgkmcnt(0)
	s_barrier
	ds_read_b64 v[2:3], v1
	v_subrev_u32_e32 v6, 64, v5
	v_accvgpr_read_b32 v7, a139
	v_cvt_f16_f32_e32 v7, v7
	s_waitcnt lgkmcnt(0)
	buffer_store_dwordx2 v[2:3], v6, s[4:7], 0 offen
	v_accvgpr_read_b32 v2, a136
	v_accvgpr_read_b32 v3, a137
	v_accvgpr_read_b32 v6, a138
	v_cvt_f16_f32_e32 v2, v2
	v_cvt_f16_f32_e32 v3, v3
	v_cvt_f16_f32_e32 v6, v6
	s_waitcnt lgkmcnt(0)
	s_barrier
	ds_write_b16 v0, v2
	ds_write_b16 v0, v3 offset:64
	ds_write_b16 v0, v6 offset:128
	ds_write_b16 v0, v7 offset:192
	s_waitcnt lgkmcnt(0)
	s_barrier
	ds_read_b64 v[2:3], v1
	v_add_u32_e32 v6, 0xffffff80, v5
	v_accvgpr_read_b32 v7, a187
	v_cvt_f16_f32_e32 v7, v7
	s_waitcnt lgkmcnt(0)
	buffer_store_dwordx2 v[2:3], v6, s[4:7], 0 offen
	v_accvgpr_read_b32 v2, a184
	v_accvgpr_read_b32 v3, a185
	v_accvgpr_read_b32 v6, a186
	v_cvt_f16_f32_e32 v2, v2
	v_cvt_f16_f32_e32 v3, v3
	v_cvt_f16_f32_e32 v6, v6
	s_waitcnt lgkmcnt(0)
	s_barrier
	ds_write_b16 v0, v2
	ds_write_b16 v0, v3 offset:64
	ds_write_b16 v0, v6 offset:128
	ds_write_b16 v0, v7 offset:192
	s_waitcnt lgkmcnt(0)
	s_barrier
	ds_read_b64 v[2:3], v1
	v_add_u32_e32 v6, 0xffffff40, v5
	;; [unrolled: 20-line block ×4, first 2 shown]
	v_accvgpr_read_b32 v7, a167
	v_cvt_f16_f32_e32 v7, v7
	v_add_u32_e32 v5, 0xfffffe80, v5
	s_waitcnt lgkmcnt(0)
	buffer_store_dwordx2 v[2:3], v6, s[4:7], 0 offen
	v_accvgpr_read_b32 v2, a164
	v_accvgpr_read_b32 v3, a165
	;; [unrolled: 1-line block ×3, first 2 shown]
	v_cvt_f16_f32_e32 v2, v2
	v_cvt_f16_f32_e32 v3, v3
	;; [unrolled: 1-line block ×3, first 2 shown]
	s_waitcnt lgkmcnt(0)
	s_barrier
	ds_write_b16 v0, v2
	ds_write_b16 v0, v3 offset:64
	ds_write_b16 v0, v6 offset:128
	;; [unrolled: 1-line block ×3, first 2 shown]
	s_waitcnt lgkmcnt(0)
	s_barrier
	ds_read_b64 v[2:3], v1
	v_accvgpr_read_b32 v6, a163
	v_cvt_f16_f32_e32 v6, v6
	s_waitcnt lgkmcnt(0)
	buffer_store_dwordx2 v[2:3], v5, s[4:7], 0 offen
	v_accvgpr_read_b32 v2, a160
	v_accvgpr_read_b32 v3, a161
	;; [unrolled: 1-line block ×3, first 2 shown]
	v_cvt_f16_f32_e32 v2, v2
	v_cvt_f16_f32_e32 v3, v3
	;; [unrolled: 1-line block ×3, first 2 shown]
	s_waitcnt lgkmcnt(0)
	s_barrier
	ds_write_b16 v0, v2
	ds_write_b16 v0, v3 offset:64
	ds_write_b16 v0, v5 offset:128
	ds_write_b16 v0, v6 offset:192
	s_waitcnt lgkmcnt(0)
	s_barrier
	ds_read_b64 v[0:1], v1
	v_add_lshl_u32 v2, v4, s0, 1
	s_waitcnt lgkmcnt(0)
	buffer_store_dwordx2 v[0:1], v2, s[4:7], 0 offen
	s_endpgm
	.section	.rodata,"a",@progbits
	.p2align	6, 0x0
	.amdhsa_kernel _ZN2ck27kernel_gemm_xdl_cshuffle_v2INS_28GridwiseGemm_xdl_cshuffle_v2INS_13tensor_layout4gemm8RowMajorES4_S4_DF16_DF16_fDF16_DF16_NS_16tensor_operation12element_wise11PassThroughES7_S7_LNS5_6device18GemmSpecializationE0ELNS_25InMemoryDataOperationEnumE0ELi2ELi256ELi256ELi256ELi32ELi8ELi4ELi16ELi16ELi8ELi8ENS_8SequenceIJLi4ELi64ELi1EEEENSB_IJLi1ELi0ELi2EEEESD_Li2ELi8ELi8ELb0ELi0ENSB_IJLi8ELi32ELi1EEEENSB_IJLi0ELi2ELi1EEEESF_Li1ELi8ELi4ELb0ELi0ELi1ELi1ENSB_IJLi1ELi32ELi1ELi8EEEELi4ELNS_13LoopSchedulerE0ELNS_15PipelineVersionE0EDF16_DF16_EELb1ELi3EEEvNT_8ArgumentE
		.amdhsa_group_segment_fixed_size 65536
		.amdhsa_private_segment_fixed_size 148
		.amdhsa_kernarg_size 96
		.amdhsa_user_sgpr_count 2
		.amdhsa_user_sgpr_dispatch_ptr 0
		.amdhsa_user_sgpr_queue_ptr 0
		.amdhsa_user_sgpr_kernarg_segment_ptr 1
		.amdhsa_user_sgpr_dispatch_id 0
		.amdhsa_user_sgpr_kernarg_preload_length 0
		.amdhsa_user_sgpr_kernarg_preload_offset 0
		.amdhsa_user_sgpr_private_segment_size 0
		.amdhsa_uses_dynamic_stack 0
		.amdhsa_enable_private_segment 1
		.amdhsa_system_sgpr_workgroup_id_x 1
		.amdhsa_system_sgpr_workgroup_id_y 0
		.amdhsa_system_sgpr_workgroup_id_z 0
		.amdhsa_system_sgpr_workgroup_info 0
		.amdhsa_system_vgpr_workitem_id 0
		.amdhsa_next_free_vgpr 512
		.amdhsa_next_free_sgpr 96
		.amdhsa_accum_offset 256
		.amdhsa_reserve_vcc 0
		.amdhsa_float_round_mode_32 0
		.amdhsa_float_round_mode_16_64 0
		.amdhsa_float_denorm_mode_32 3
		.amdhsa_float_denorm_mode_16_64 3
		.amdhsa_dx10_clamp 1
		.amdhsa_ieee_mode 1
		.amdhsa_fp16_overflow 0
		.amdhsa_tg_split 0
		.amdhsa_exception_fp_ieee_invalid_op 0
		.amdhsa_exception_fp_denorm_src 0
		.amdhsa_exception_fp_ieee_div_zero 0
		.amdhsa_exception_fp_ieee_overflow 0
		.amdhsa_exception_fp_ieee_underflow 0
		.amdhsa_exception_fp_ieee_inexact 0
		.amdhsa_exception_int_div_zero 0
	.end_amdhsa_kernel
	.section	.text._ZN2ck27kernel_gemm_xdl_cshuffle_v2INS_28GridwiseGemm_xdl_cshuffle_v2INS_13tensor_layout4gemm8RowMajorES4_S4_DF16_DF16_fDF16_DF16_NS_16tensor_operation12element_wise11PassThroughES7_S7_LNS5_6device18GemmSpecializationE0ELNS_25InMemoryDataOperationEnumE0ELi2ELi256ELi256ELi256ELi32ELi8ELi4ELi16ELi16ELi8ELi8ENS_8SequenceIJLi4ELi64ELi1EEEENSB_IJLi1ELi0ELi2EEEESD_Li2ELi8ELi8ELb0ELi0ENSB_IJLi8ELi32ELi1EEEENSB_IJLi0ELi2ELi1EEEESF_Li1ELi8ELi4ELb0ELi0ELi1ELi1ENSB_IJLi1ELi32ELi1ELi8EEEELi4ELNS_13LoopSchedulerE0ELNS_15PipelineVersionE0EDF16_DF16_EELb1ELi3EEEvNT_8ArgumentE,"axG",@progbits,_ZN2ck27kernel_gemm_xdl_cshuffle_v2INS_28GridwiseGemm_xdl_cshuffle_v2INS_13tensor_layout4gemm8RowMajorES4_S4_DF16_DF16_fDF16_DF16_NS_16tensor_operation12element_wise11PassThroughES7_S7_LNS5_6device18GemmSpecializationE0ELNS_25InMemoryDataOperationEnumE0ELi2ELi256ELi256ELi256ELi32ELi8ELi4ELi16ELi16ELi8ELi8ENS_8SequenceIJLi4ELi64ELi1EEEENSB_IJLi1ELi0ELi2EEEESD_Li2ELi8ELi8ELb0ELi0ENSB_IJLi8ELi32ELi1EEEENSB_IJLi0ELi2ELi1EEEESF_Li1ELi8ELi4ELb0ELi0ELi1ELi1ENSB_IJLi1ELi32ELi1ELi8EEEELi4ELNS_13LoopSchedulerE0ELNS_15PipelineVersionE0EDF16_DF16_EELb1ELi3EEEvNT_8ArgumentE,comdat
.Lfunc_end1:
	.size	_ZN2ck27kernel_gemm_xdl_cshuffle_v2INS_28GridwiseGemm_xdl_cshuffle_v2INS_13tensor_layout4gemm8RowMajorES4_S4_DF16_DF16_fDF16_DF16_NS_16tensor_operation12element_wise11PassThroughES7_S7_LNS5_6device18GemmSpecializationE0ELNS_25InMemoryDataOperationEnumE0ELi2ELi256ELi256ELi256ELi32ELi8ELi4ELi16ELi16ELi8ELi8ENS_8SequenceIJLi4ELi64ELi1EEEENSB_IJLi1ELi0ELi2EEEESD_Li2ELi8ELi8ELb0ELi0ENSB_IJLi8ELi32ELi1EEEENSB_IJLi0ELi2ELi1EEEESF_Li1ELi8ELi4ELb0ELi0ELi1ELi1ENSB_IJLi1ELi32ELi1ELi8EEEELi4ELNS_13LoopSchedulerE0ELNS_15PipelineVersionE0EDF16_DF16_EELb1ELi3EEEvNT_8ArgumentE, .Lfunc_end1-_ZN2ck27kernel_gemm_xdl_cshuffle_v2INS_28GridwiseGemm_xdl_cshuffle_v2INS_13tensor_layout4gemm8RowMajorES4_S4_DF16_DF16_fDF16_DF16_NS_16tensor_operation12element_wise11PassThroughES7_S7_LNS5_6device18GemmSpecializationE0ELNS_25InMemoryDataOperationEnumE0ELi2ELi256ELi256ELi256ELi32ELi8ELi4ELi16ELi16ELi8ELi8ENS_8SequenceIJLi4ELi64ELi1EEEENSB_IJLi1ELi0ELi2EEEESD_Li2ELi8ELi8ELb0ELi0ENSB_IJLi8ELi32ELi1EEEENSB_IJLi0ELi2ELi1EEEESF_Li1ELi8ELi4ELb0ELi0ELi1ELi1ENSB_IJLi1ELi32ELi1ELi8EEEELi4ELNS_13LoopSchedulerE0ELNS_15PipelineVersionE0EDF16_DF16_EELb1ELi3EEEvNT_8ArgumentE
                                        ; -- End function
	.set _ZN2ck27kernel_gemm_xdl_cshuffle_v2INS_28GridwiseGemm_xdl_cshuffle_v2INS_13tensor_layout4gemm8RowMajorES4_S4_DF16_DF16_fDF16_DF16_NS_16tensor_operation12element_wise11PassThroughES7_S7_LNS5_6device18GemmSpecializationE0ELNS_25InMemoryDataOperationEnumE0ELi2ELi256ELi256ELi256ELi32ELi8ELi4ELi16ELi16ELi8ELi8ENS_8SequenceIJLi4ELi64ELi1EEEENSB_IJLi1ELi0ELi2EEEESD_Li2ELi8ELi8ELb0ELi0ENSB_IJLi8ELi32ELi1EEEENSB_IJLi0ELi2ELi1EEEESF_Li1ELi8ELi4ELb0ELi0ELi1ELi1ENSB_IJLi1ELi32ELi1ELi8EEEELi4ELNS_13LoopSchedulerE0ELNS_15PipelineVersionE0EDF16_DF16_EELb1ELi3EEEvNT_8ArgumentE.num_vgpr, 256
	.set _ZN2ck27kernel_gemm_xdl_cshuffle_v2INS_28GridwiseGemm_xdl_cshuffle_v2INS_13tensor_layout4gemm8RowMajorES4_S4_DF16_DF16_fDF16_DF16_NS_16tensor_operation12element_wise11PassThroughES7_S7_LNS5_6device18GemmSpecializationE0ELNS_25InMemoryDataOperationEnumE0ELi2ELi256ELi256ELi256ELi32ELi8ELi4ELi16ELi16ELi8ELi8ENS_8SequenceIJLi4ELi64ELi1EEEENSB_IJLi1ELi0ELi2EEEESD_Li2ELi8ELi8ELb0ELi0ENSB_IJLi8ELi32ELi1EEEENSB_IJLi0ELi2ELi1EEEESF_Li1ELi8ELi4ELb0ELi0ELi1ELi1ENSB_IJLi1ELi32ELi1ELi8EEEELi4ELNS_13LoopSchedulerE0ELNS_15PipelineVersionE0EDF16_DF16_EELb1ELi3EEEvNT_8ArgumentE.num_agpr, 256
	.set _ZN2ck27kernel_gemm_xdl_cshuffle_v2INS_28GridwiseGemm_xdl_cshuffle_v2INS_13tensor_layout4gemm8RowMajorES4_S4_DF16_DF16_fDF16_DF16_NS_16tensor_operation12element_wise11PassThroughES7_S7_LNS5_6device18GemmSpecializationE0ELNS_25InMemoryDataOperationEnumE0ELi2ELi256ELi256ELi256ELi32ELi8ELi4ELi16ELi16ELi8ELi8ENS_8SequenceIJLi4ELi64ELi1EEEENSB_IJLi1ELi0ELi2EEEESD_Li2ELi8ELi8ELb0ELi0ENSB_IJLi8ELi32ELi1EEEENSB_IJLi0ELi2ELi1EEEESF_Li1ELi8ELi4ELb0ELi0ELi1ELi1ENSB_IJLi1ELi32ELi1ELi8EEEELi4ELNS_13LoopSchedulerE0ELNS_15PipelineVersionE0EDF16_DF16_EELb1ELi3EEEvNT_8ArgumentE.numbered_sgpr, 31
	.set _ZN2ck27kernel_gemm_xdl_cshuffle_v2INS_28GridwiseGemm_xdl_cshuffle_v2INS_13tensor_layout4gemm8RowMajorES4_S4_DF16_DF16_fDF16_DF16_NS_16tensor_operation12element_wise11PassThroughES7_S7_LNS5_6device18GemmSpecializationE0ELNS_25InMemoryDataOperationEnumE0ELi2ELi256ELi256ELi256ELi32ELi8ELi4ELi16ELi16ELi8ELi8ENS_8SequenceIJLi4ELi64ELi1EEEENSB_IJLi1ELi0ELi2EEEESD_Li2ELi8ELi8ELb0ELi0ENSB_IJLi8ELi32ELi1EEEENSB_IJLi0ELi2ELi1EEEESF_Li1ELi8ELi4ELb0ELi0ELi1ELi1ENSB_IJLi1ELi32ELi1ELi8EEEELi4ELNS_13LoopSchedulerE0ELNS_15PipelineVersionE0EDF16_DF16_EELb1ELi3EEEvNT_8ArgumentE.num_named_barrier, 0
	.set _ZN2ck27kernel_gemm_xdl_cshuffle_v2INS_28GridwiseGemm_xdl_cshuffle_v2INS_13tensor_layout4gemm8RowMajorES4_S4_DF16_DF16_fDF16_DF16_NS_16tensor_operation12element_wise11PassThroughES7_S7_LNS5_6device18GemmSpecializationE0ELNS_25InMemoryDataOperationEnumE0ELi2ELi256ELi256ELi256ELi32ELi8ELi4ELi16ELi16ELi8ELi8ENS_8SequenceIJLi4ELi64ELi1EEEENSB_IJLi1ELi0ELi2EEEESD_Li2ELi8ELi8ELb0ELi0ENSB_IJLi8ELi32ELi1EEEENSB_IJLi0ELi2ELi1EEEESF_Li1ELi8ELi4ELb0ELi0ELi1ELi1ENSB_IJLi1ELi32ELi1ELi8EEEELi4ELNS_13LoopSchedulerE0ELNS_15PipelineVersionE0EDF16_DF16_EELb1ELi3EEEvNT_8ArgumentE.private_seg_size, 148
	.set _ZN2ck27kernel_gemm_xdl_cshuffle_v2INS_28GridwiseGemm_xdl_cshuffle_v2INS_13tensor_layout4gemm8RowMajorES4_S4_DF16_DF16_fDF16_DF16_NS_16tensor_operation12element_wise11PassThroughES7_S7_LNS5_6device18GemmSpecializationE0ELNS_25InMemoryDataOperationEnumE0ELi2ELi256ELi256ELi256ELi32ELi8ELi4ELi16ELi16ELi8ELi8ENS_8SequenceIJLi4ELi64ELi1EEEENSB_IJLi1ELi0ELi2EEEESD_Li2ELi8ELi8ELb0ELi0ENSB_IJLi8ELi32ELi1EEEENSB_IJLi0ELi2ELi1EEEESF_Li1ELi8ELi4ELb0ELi0ELi1ELi1ENSB_IJLi1ELi32ELi1ELi8EEEELi4ELNS_13LoopSchedulerE0ELNS_15PipelineVersionE0EDF16_DF16_EELb1ELi3EEEvNT_8ArgumentE.uses_vcc, 0
	.set _ZN2ck27kernel_gemm_xdl_cshuffle_v2INS_28GridwiseGemm_xdl_cshuffle_v2INS_13tensor_layout4gemm8RowMajorES4_S4_DF16_DF16_fDF16_DF16_NS_16tensor_operation12element_wise11PassThroughES7_S7_LNS5_6device18GemmSpecializationE0ELNS_25InMemoryDataOperationEnumE0ELi2ELi256ELi256ELi256ELi32ELi8ELi4ELi16ELi16ELi8ELi8ENS_8SequenceIJLi4ELi64ELi1EEEENSB_IJLi1ELi0ELi2EEEESD_Li2ELi8ELi8ELb0ELi0ENSB_IJLi8ELi32ELi1EEEENSB_IJLi0ELi2ELi1EEEESF_Li1ELi8ELi4ELb0ELi0ELi1ELi1ENSB_IJLi1ELi32ELi1ELi8EEEELi4ELNS_13LoopSchedulerE0ELNS_15PipelineVersionE0EDF16_DF16_EELb1ELi3EEEvNT_8ArgumentE.uses_flat_scratch, 0
	.set _ZN2ck27kernel_gemm_xdl_cshuffle_v2INS_28GridwiseGemm_xdl_cshuffle_v2INS_13tensor_layout4gemm8RowMajorES4_S4_DF16_DF16_fDF16_DF16_NS_16tensor_operation12element_wise11PassThroughES7_S7_LNS5_6device18GemmSpecializationE0ELNS_25InMemoryDataOperationEnumE0ELi2ELi256ELi256ELi256ELi32ELi8ELi4ELi16ELi16ELi8ELi8ENS_8SequenceIJLi4ELi64ELi1EEEENSB_IJLi1ELi0ELi2EEEESD_Li2ELi8ELi8ELb0ELi0ENSB_IJLi8ELi32ELi1EEEENSB_IJLi0ELi2ELi1EEEESF_Li1ELi8ELi4ELb0ELi0ELi1ELi1ENSB_IJLi1ELi32ELi1ELi8EEEELi4ELNS_13LoopSchedulerE0ELNS_15PipelineVersionE0EDF16_DF16_EELb1ELi3EEEvNT_8ArgumentE.has_dyn_sized_stack, 0
	.set _ZN2ck27kernel_gemm_xdl_cshuffle_v2INS_28GridwiseGemm_xdl_cshuffle_v2INS_13tensor_layout4gemm8RowMajorES4_S4_DF16_DF16_fDF16_DF16_NS_16tensor_operation12element_wise11PassThroughES7_S7_LNS5_6device18GemmSpecializationE0ELNS_25InMemoryDataOperationEnumE0ELi2ELi256ELi256ELi256ELi32ELi8ELi4ELi16ELi16ELi8ELi8ENS_8SequenceIJLi4ELi64ELi1EEEENSB_IJLi1ELi0ELi2EEEESD_Li2ELi8ELi8ELb0ELi0ENSB_IJLi8ELi32ELi1EEEENSB_IJLi0ELi2ELi1EEEESF_Li1ELi8ELi4ELb0ELi0ELi1ELi1ENSB_IJLi1ELi32ELi1ELi8EEEELi4ELNS_13LoopSchedulerE0ELNS_15PipelineVersionE0EDF16_DF16_EELb1ELi3EEEvNT_8ArgumentE.has_recursion, 0
	.set _ZN2ck27kernel_gemm_xdl_cshuffle_v2INS_28GridwiseGemm_xdl_cshuffle_v2INS_13tensor_layout4gemm8RowMajorES4_S4_DF16_DF16_fDF16_DF16_NS_16tensor_operation12element_wise11PassThroughES7_S7_LNS5_6device18GemmSpecializationE0ELNS_25InMemoryDataOperationEnumE0ELi2ELi256ELi256ELi256ELi32ELi8ELi4ELi16ELi16ELi8ELi8ENS_8SequenceIJLi4ELi64ELi1EEEENSB_IJLi1ELi0ELi2EEEESD_Li2ELi8ELi8ELb0ELi0ENSB_IJLi8ELi32ELi1EEEENSB_IJLi0ELi2ELi1EEEESF_Li1ELi8ELi4ELb0ELi0ELi1ELi1ENSB_IJLi1ELi32ELi1ELi8EEEELi4ELNS_13LoopSchedulerE0ELNS_15PipelineVersionE0EDF16_DF16_EELb1ELi3EEEvNT_8ArgumentE.has_indirect_call, 0
	.section	.AMDGPU.csdata,"",@progbits
; Kernel info:
; codeLenInByte = 22184
; TotalNumSgprs: 37
; NumVgprs: 256
; NumAgprs: 256
; TotalNumVgprs: 512
; ScratchSize: 148
; MemoryBound: 0
; FloatMode: 240
; IeeeMode: 1
; LDSByteSize: 65536 bytes/workgroup (compile time only)
; SGPRBlocks: 12
; VGPRBlocks: 63
; NumSGPRsForWavesPerEU: 102
; NumVGPRsForWavesPerEU: 512
; AccumOffset: 256
; Occupancy: 1
; WaveLimiterHint : 0
; COMPUTE_PGM_RSRC2:SCRATCH_EN: 1
; COMPUTE_PGM_RSRC2:USER_SGPR: 2
; COMPUTE_PGM_RSRC2:TRAP_HANDLER: 0
; COMPUTE_PGM_RSRC2:TGID_X_EN: 1
; COMPUTE_PGM_RSRC2:TGID_Y_EN: 0
; COMPUTE_PGM_RSRC2:TGID_Z_EN: 0
; COMPUTE_PGM_RSRC2:TIDIG_COMP_CNT: 0
; COMPUTE_PGM_RSRC3_GFX90A:ACCUM_OFFSET: 63
; COMPUTE_PGM_RSRC3_GFX90A:TG_SPLIT: 0
	.section	.text._ZN2ck27kernel_gemm_xdl_cshuffle_v2INS_28GridwiseGemm_xdl_cshuffle_v2INS_13tensor_layout4gemm8RowMajorES4_S4_DF16_DF16_fDF16_DF16_NS_16tensor_operation12element_wise11PassThroughES7_S7_LNS5_6device18GemmSpecializationE0ELNS_25InMemoryDataOperationEnumE0ELi2ELi256ELi256ELi256ELi32ELi8ELi4ELi16ELi16ELi8ELi8ENS_8SequenceIJLi4ELi64ELi1EEEENSB_IJLi1ELi0ELi2EEEESD_Li2ELi8ELi8ELb0ELi0ENSB_IJLi8ELi32ELi1EEEENSB_IJLi0ELi2ELi1EEEESF_Li1ELi8ELi4ELb0ELi0ELi1ELi1ENSB_IJLi1ELi32ELi1ELi8EEEELi4ELNS_13LoopSchedulerE0ELNS_15PipelineVersionE0EDF16_DF16_EELb1ELi2EEEvNT_8ArgumentE,"axG",@progbits,_ZN2ck27kernel_gemm_xdl_cshuffle_v2INS_28GridwiseGemm_xdl_cshuffle_v2INS_13tensor_layout4gemm8RowMajorES4_S4_DF16_DF16_fDF16_DF16_NS_16tensor_operation12element_wise11PassThroughES7_S7_LNS5_6device18GemmSpecializationE0ELNS_25InMemoryDataOperationEnumE0ELi2ELi256ELi256ELi256ELi32ELi8ELi4ELi16ELi16ELi8ELi8ENS_8SequenceIJLi4ELi64ELi1EEEENSB_IJLi1ELi0ELi2EEEESD_Li2ELi8ELi8ELb0ELi0ENSB_IJLi8ELi32ELi1EEEENSB_IJLi0ELi2ELi1EEEESF_Li1ELi8ELi4ELb0ELi0ELi1ELi1ENSB_IJLi1ELi32ELi1ELi8EEEELi4ELNS_13LoopSchedulerE0ELNS_15PipelineVersionE0EDF16_DF16_EELb1ELi2EEEvNT_8ArgumentE,comdat
	.protected	_ZN2ck27kernel_gemm_xdl_cshuffle_v2INS_28GridwiseGemm_xdl_cshuffle_v2INS_13tensor_layout4gemm8RowMajorES4_S4_DF16_DF16_fDF16_DF16_NS_16tensor_operation12element_wise11PassThroughES7_S7_LNS5_6device18GemmSpecializationE0ELNS_25InMemoryDataOperationEnumE0ELi2ELi256ELi256ELi256ELi32ELi8ELi4ELi16ELi16ELi8ELi8ENS_8SequenceIJLi4ELi64ELi1EEEENSB_IJLi1ELi0ELi2EEEESD_Li2ELi8ELi8ELb0ELi0ENSB_IJLi8ELi32ELi1EEEENSB_IJLi0ELi2ELi1EEEESF_Li1ELi8ELi4ELb0ELi0ELi1ELi1ENSB_IJLi1ELi32ELi1ELi8EEEELi4ELNS_13LoopSchedulerE0ELNS_15PipelineVersionE0EDF16_DF16_EELb1ELi2EEEvNT_8ArgumentE ; -- Begin function _ZN2ck27kernel_gemm_xdl_cshuffle_v2INS_28GridwiseGemm_xdl_cshuffle_v2INS_13tensor_layout4gemm8RowMajorES4_S4_DF16_DF16_fDF16_DF16_NS_16tensor_operation12element_wise11PassThroughES7_S7_LNS5_6device18GemmSpecializationE0ELNS_25InMemoryDataOperationEnumE0ELi2ELi256ELi256ELi256ELi32ELi8ELi4ELi16ELi16ELi8ELi8ENS_8SequenceIJLi4ELi64ELi1EEEENSB_IJLi1ELi0ELi2EEEESD_Li2ELi8ELi8ELb0ELi0ENSB_IJLi8ELi32ELi1EEEENSB_IJLi0ELi2ELi1EEEESF_Li1ELi8ELi4ELb0ELi0ELi1ELi1ENSB_IJLi1ELi32ELi1ELi8EEEELi4ELNS_13LoopSchedulerE0ELNS_15PipelineVersionE0EDF16_DF16_EELb1ELi2EEEvNT_8ArgumentE
	.globl	_ZN2ck27kernel_gemm_xdl_cshuffle_v2INS_28GridwiseGemm_xdl_cshuffle_v2INS_13tensor_layout4gemm8RowMajorES4_S4_DF16_DF16_fDF16_DF16_NS_16tensor_operation12element_wise11PassThroughES7_S7_LNS5_6device18GemmSpecializationE0ELNS_25InMemoryDataOperationEnumE0ELi2ELi256ELi256ELi256ELi32ELi8ELi4ELi16ELi16ELi8ELi8ENS_8SequenceIJLi4ELi64ELi1EEEENSB_IJLi1ELi0ELi2EEEESD_Li2ELi8ELi8ELb0ELi0ENSB_IJLi8ELi32ELi1EEEENSB_IJLi0ELi2ELi1EEEESF_Li1ELi8ELi4ELb0ELi0ELi1ELi1ENSB_IJLi1ELi32ELi1ELi8EEEELi4ELNS_13LoopSchedulerE0ELNS_15PipelineVersionE0EDF16_DF16_EELb1ELi2EEEvNT_8ArgumentE
	.p2align	8
	.type	_ZN2ck27kernel_gemm_xdl_cshuffle_v2INS_28GridwiseGemm_xdl_cshuffle_v2INS_13tensor_layout4gemm8RowMajorES4_S4_DF16_DF16_fDF16_DF16_NS_16tensor_operation12element_wise11PassThroughES7_S7_LNS5_6device18GemmSpecializationE0ELNS_25InMemoryDataOperationEnumE0ELi2ELi256ELi256ELi256ELi32ELi8ELi4ELi16ELi16ELi8ELi8ENS_8SequenceIJLi4ELi64ELi1EEEENSB_IJLi1ELi0ELi2EEEESD_Li2ELi8ELi8ELb0ELi0ENSB_IJLi8ELi32ELi1EEEENSB_IJLi0ELi2ELi1EEEESF_Li1ELi8ELi4ELb0ELi0ELi1ELi1ENSB_IJLi1ELi32ELi1ELi8EEEELi4ELNS_13LoopSchedulerE0ELNS_15PipelineVersionE0EDF16_DF16_EELb1ELi2EEEvNT_8ArgumentE,@function
_ZN2ck27kernel_gemm_xdl_cshuffle_v2INS_28GridwiseGemm_xdl_cshuffle_v2INS_13tensor_layout4gemm8RowMajorES4_S4_DF16_DF16_fDF16_DF16_NS_16tensor_operation12element_wise11PassThroughES7_S7_LNS5_6device18GemmSpecializationE0ELNS_25InMemoryDataOperationEnumE0ELi2ELi256ELi256ELi256ELi32ELi8ELi4ELi16ELi16ELi8ELi8ENS_8SequenceIJLi4ELi64ELi1EEEENSB_IJLi1ELi0ELi2EEEESD_Li2ELi8ELi8ELb0ELi0ENSB_IJLi8ELi32ELi1EEEENSB_IJLi0ELi2ELi1EEEESF_Li1ELi8ELi4ELb0ELi0ELi1ELi1ENSB_IJLi1ELi32ELi1ELi8EEEELi4ELNS_13LoopSchedulerE0ELNS_15PipelineVersionE0EDF16_DF16_EELb1ELi2EEEvNT_8ArgumentE: ; @_ZN2ck27kernel_gemm_xdl_cshuffle_v2INS_28GridwiseGemm_xdl_cshuffle_v2INS_13tensor_layout4gemm8RowMajorES4_S4_DF16_DF16_fDF16_DF16_NS_16tensor_operation12element_wise11PassThroughES7_S7_LNS5_6device18GemmSpecializationE0ELNS_25InMemoryDataOperationEnumE0ELi2ELi256ELi256ELi256ELi32ELi8ELi4ELi16ELi16ELi8ELi8ENS_8SequenceIJLi4ELi64ELi1EEEENSB_IJLi1ELi0ELi2EEEESD_Li2ELi8ELi8ELb0ELi0ENSB_IJLi8ELi32ELi1EEEENSB_IJLi0ELi2ELi1EEEESF_Li1ELi8ELi4ELb0ELi0ELi1ELi1ENSB_IJLi1ELi32ELi1ELi8EEEELi4ELNS_13LoopSchedulerE0ELNS_15PipelineVersionE0EDF16_DF16_EELb1ELi2EEEvNT_8ArgumentE
; %bb.0:
	s_load_dwordx4 s[8:11], s[0:1], 0x10
	s_load_dwordx2 s[28:29], s[0:1], 0x20
	s_load_dword s12, s[0:1], 0x34
	s_load_dwordx4 s[20:23], s[0:1], 0x48
	s_load_dwordx2 s[4:5], s[0:1], 0x58
	s_waitcnt lgkmcnt(0)
	s_add_i32 s3, s8, -1
	s_cmpk_lt_u32 s3, 0x100
	s_mov_b32 s6, 0
	s_cbranch_scc1 .LBB2_4
; %bb.1:
	s_add_i32 s0, s9, -1
	s_cmpk_lt_u32 s0, 0x100
	s_mov_b32 s1, 0
	s_cbranch_scc1 .LBB2_8
; %bb.2:
	s_add_i32 s0, s8, 0xff
	s_ashr_i32 s1, s0, 31
	s_lshr_b32 s1, s1, 24
	s_add_i32 s0, s0, s1
	s_ashr_i32 s8, s0, 8
	s_add_i32 s0, s9, 0xff
	s_ashr_i32 s1, s0, 31
	s_lshr_b32 s1, s1, 24
	s_add_i32 s0, s0, s1
	s_ashr_i32 s7, s0, 8
	s_mul_i32 s0, s7, s8
	s_add_i32 s1, s0, 7
	s_ashr_i32 s13, s1, 31
	s_lshr_b32 s13, s13, 29
	s_add_i32 s1, s1, s13
	s_ashr_i32 s13, s1, 3
	s_and_b32 s1, s1, -8
	s_sub_i32 s14, s0, s1
	s_ashr_i32 s0, s2, 31
	s_lshr_b32 s0, s0, 29
	s_add_i32 s16, s2, s0
	s_and_b32 s0, s16, -8
	s_add_i32 s14, s14, 8
	s_sub_i32 s15, s2, s0
	s_cmp_gt_i32 s15, s14
	s_cbranch_scc1 .LBB2_5
; %bb.3:
	s_mul_i32 s2, s13, s15
	s_ashr_i32 s0, s16, 3
	s_cbranch_execz .LBB2_6
	s_branch .LBB2_7
.LBB2_4:
	s_mov_b32 s0, 0
	s_branch .LBB2_9
.LBB2_5:
                                        ; implicit-def: $sgpr2
	s_ashr_i32 s0, s16, 3
.LBB2_6:
	s_add_i32 s1, s13, -1
	s_mul_i32 s1, s1, s15
	s_add_i32 s2, s14, s1
.LBB2_7:
	s_abs_i32 s1, s7
	v_cvt_f32_u32_e32 v1, s1
	s_sub_i32 s14, 0, s1
	s_add_i32 s0, s2, s0
	s_abs_i32 s13, s0
	v_rcp_iflag_f32_e32 v1, v1
	s_xor_b32 s2, s0, s7
	s_ashr_i32 s2, s2, 31
	v_mul_f32_e32 v1, 0x4f7ffffe, v1
	v_cvt_u32_f32_e32 v1, v1
	s_nop 0
	v_readfirstlane_b32 s15, v1
	s_mul_i32 s14, s14, s15
	s_mul_hi_u32 s14, s15, s14
	s_add_i32 s15, s15, s14
	s_mul_hi_u32 s14, s13, s15
	s_mul_i32 s15, s14, s1
	s_sub_i32 s13, s13, s15
	s_add_i32 s16, s14, 1
	s_sub_i32 s15, s13, s1
	s_cmp_ge_u32 s13, s1
	s_cselect_b32 s14, s16, s14
	s_cselect_b32 s13, s15, s13
	s_add_i32 s15, s14, 1
	s_cmp_ge_u32 s13, s1
	s_cselect_b32 s1, s15, s14
	s_xor_b32 s1, s1, s2
	s_lshr_b32 s13, s8, 30
	s_sub_i32 s2, s1, s2
	s_add_i32 s13, s8, s13
	s_mul_i32 s1, s2, s7
	s_sub_i32 s0, s0, s1
	s_and_b32 s1, s13, -4
	s_sub_i32 s8, s8, s1
	s_cmp_ge_i32 s2, s1
	s_cselect_b32 s8, s8, 4
	s_abs_i32 s13, s8
	v_cvt_f32_u32_e32 v1, s13
	s_ashr_i32 s1, s2, 31
	s_lshr_b32 s1, s1, 30
	s_add_i32 s1, s2, s1
	v_rcp_iflag_f32_e32 v1, v1
	s_and_b32 s1, s1, -4
	s_sub_i32 s14, s2, s1
	s_sub_i32 s15, 0, s13
	v_mul_f32_e32 v1, 0x4f7ffffe, v1
	v_cvt_u32_f32_e32 v1, v1
	s_mul_i32 s1, s14, s7
	s_add_i32 s0, s1, s0
	s_abs_i32 s7, s0
	v_readfirstlane_b32 s16, v1
	s_mul_i32 s15, s15, s16
	s_mul_hi_u32 s15, s16, s15
	s_add_i32 s16, s16, s15
	s_mul_hi_u32 s15, s7, s16
	s_mul_i32 s16, s15, s13
	s_xor_b32 s1, s0, s8
	s_sub_i32 s7, s7, s16
	s_ashr_i32 s1, s1, 31
	s_add_i32 s16, s15, 1
	s_sub_i32 s17, s7, s13
	s_cmp_ge_u32 s7, s13
	s_cselect_b32 s15, s16, s15
	s_cselect_b32 s7, s17, s7
	s_add_i32 s16, s15, 1
	s_cmp_ge_u32 s7, s13
	s_cselect_b32 s7, s16, s15
	s_xor_b32 s7, s7, s1
	s_sub_i32 s1, s7, s1
	s_mul_i32 s7, s1, s8
	s_sub_i32 s0, s0, s7
	s_add_i32 s0, s0, s2
	s_sub_i32 s2, s0, s14
.LBB2_8:
	s_mov_b32 s0, s2
	s_mov_b32 s2, s1
.LBB2_9:
	v_lshrrev_b32_e32 v35, 5, v0
	v_lshlrev_b32_e32 v3, 3, v0
	s_add_i32 s13, s10, 0x7fffffff
	v_and_b32_e32 v36, 0xf8, v3
	v_mul_lo_u32 v3, v35, s28
	s_mul_i32 s16, s13, s28
	s_lshl_b32 s13, s2, 8
	v_lshlrev_b32_e32 v3, 2, v3
	v_and_b32_e32 v1, 0xfc, v0
	v_add3_u32 v3, v3, v36, s13
	v_and_b32_e32 v70, 15, v0
	v_lshlrev_b32_e32 v4, 7, v0
	s_ashr_i32 s13, s12, 31
	v_lshl_or_b32 v2, s0, 8, v1
	v_and_b32_e32 v4, 0x1800, v4
	v_lshlrev_b32_e32 v5, 3, v70
	v_and_b32_e32 v6, 0x80, v0
	s_lshr_b32 s13, s13, 30
	v_and_b32_e32 v34, 3, v0
	v_mul_lo_u32 v2, v2, s11
	v_or3_b32 v37, v5, v6, v4
	v_lshlrev_b32_e32 v5, 2, v70
	v_and_b32_e32 v6, 64, v0
	s_add_i32 s12, s12, s13
	s_mov_b32 s1, s11
	s_mov_b32 s7, s28
	s_mul_i32 s8, s3, s11
	v_lshl_add_u32 v2, v34, 3, v2
	v_or3_b32 v38, v5, v6, v4
	s_ashr_i32 s30, s12, 2
	; sched_barrier mask(0x00000000)
	v_add_u32_e32 v12, s11, v2
	s_add_i32 s8, s10, s8
	v_add_u32_e32 v11, s28, v3
	v_add_u32_e32 v19, s11, v12
	s_lshl_b32 s14, s8, 1
	s_mov_b32 s15, 0x20000
	s_add_i32 s8, s9, s16
	v_add_u32_e32 v40, s11, v19
	s_and_b32 s13, s21, 0xffff
	s_mov_b32 s12, s20
	v_lshlrev_b32_e32 v10, 1, v2
	s_lshl_b32 s26, s8, 1
	s_and_b32 s25, s23, 0xffff
	s_mov_b32 s24, s22
	s_mov_b32 s27, s15
	v_lshlrev_b32_e32 v18, 1, v3
	v_lshlrev_b32_e32 v20, 1, v11
	v_add_u32_e32 v26, s28, v11
	v_lshlrev_b32_e32 v27, 1, v19
	v_lshlrev_b32_e32 v28, 1, v40
	v_add_u32_e32 v39, s28, v26
	v_lshlrev_b32_e32 v41, 1, v26
	v_lshlrev_b32_e32 v13, 1, v12
	buffer_load_dwordx4 v[2:5], v10, s[12:15], 0 offen
	buffer_load_dwordx4 v[6:9], v13, s[12:15], 0 offen
	s_nop 0
	buffer_load_dwordx4 v[10:13], v18, s[24:27], 0 offen
	buffer_load_dwordx4 v[14:17], v20, s[24:27], 0 offen
	s_nop 0
	buffer_load_dwordx4 v[18:21], v27, s[12:15], 0 offen
	buffer_load_dwordx4 v[22:25], v28, s[12:15], 0 offen
	v_lshlrev_b32_e32 v42, 1, v39
	buffer_load_dwordx4 v[26:29], v41, s[24:27], 0 offen
	buffer_load_dwordx4 v[30:33], v42, s[24:27], 0 offen
	s_mul_i32 s16, s11, -3
	s_mul_i32 s8, s28, 29
	v_lshlrev_b32_e32 v1, 4, v1
	s_add_i32 s23, s16, 32
	v_lshlrev_b32_e32 v35, 11, v35
	v_lshl_or_b32 v71, v34, 12, v1
	v_lshl_or_b32 v72, v36, 3, v35
	s_mov_b32 s10, 0x5040100
	s_mov_b32 s21, 0x7060302
	v_add_u32_e32 v1, s8, v39
	v_add_u32_e32 v36, s28, v1
	v_lshlrev_b32_e32 v1, 1, v1
	v_add_u32_e32 v34, s23, v40
	v_lshlrev_b32_e32 v35, 1, v34
	;; [unrolled: 2-line block ×5, first 2 shown]
	v_lshlrev_b32_e32 v75, 1, v37
	s_add_i32 s30, s30, -3
	v_add_u32_e32 v40, s28, v36
	v_add_u32_e32 v42, s28, v40
	v_lshlrev_b32_e32 v44, 1, v42
	s_mov_b32 s17, s25
	v_lshlrev_b32_e32 v40, 1, v40
	v_lshlrev_b32_e32 v36, 1, v36
	s_mov_b32 s19, s15
	v_or_b32_e32 v73, 0x8000, v75
	s_mov_b32 s18, s26
	v_or_b32_e32 v78, 0x8000, v71
	v_or_b32_e32 v79, 0x8000, v72
	v_accvgpr_write_b32 a255, 0
	v_accvgpr_write_b32 a254, 0
	;; [unrolled: 1-line block ×21, first 2 shown]
	s_waitcnt vmcnt(7)
	ds_write_b128 v71, v[2:5]
	s_waitcnt vmcnt(6)
	ds_write_b128 v71, v[6:9] offset:16
	s_waitcnt vmcnt(4)
	v_perm_b32 v2, v14, v10, s10
	v_perm_b32 v4, v14, v10, s21
	;; [unrolled: 1-line block ×3, first 2 shown]
	s_waitcnt vmcnt(0)
	v_perm_b32 v3, v30, v26, s10
	v_perm_b32 v5, v30, v26, s21
	v_perm_b32 v8, v15, v11, s21
	v_perm_b32 v10, v16, v12, s10
	v_perm_b32 v12, v16, v12, s21
	v_perm_b32 v14, v17, v13, s10
	v_perm_b32 v16, v17, v13, s21
	ds_write_b128 v71, v[18:21] offset:32
	ds_write_b128 v71, v[22:25] offset:48
	v_perm_b32 v7, v31, v27, s10
	v_perm_b32 v9, v31, v27, s21
	;; [unrolled: 1-line block ×6, first 2 shown]
	ds_write_b128 v72, v[2:5] offset:16384
	ds_write_b128 v72, v[6:9] offset:16400
	;; [unrolled: 1-line block ×4, first 2 shown]
	s_waitcnt lgkmcnt(0)
	s_barrier
	buffer_load_dwordx4 v[18:21], v35, s[12:15], 0 offen
	buffer_load_dwordx4 v[22:25], v39, s[12:15], 0 offen
	;; [unrolled: 1-line block ×8, first 2 shown]
	v_add_u32_e32 v1, s8, v42
	v_add_u32_e32 v2, s23, v34
	v_lshlrev_b32_e32 v3, 1, v2
	v_add_u32_e32 v4, s28, v1
	v_add_u32_e32 v2, s11, v2
	v_lshlrev_b32_e32 v6, 1, v2
	;; [unrolled: 3-line block ×3, first 2 shown]
	v_lshlrev_b32_e32 v5, 1, v1
	v_add_u32_e32 v1, s28, v7
	v_add_u32_e32 v26, s11, v2
	;; [unrolled: 1-line block ×3, first 2 shown]
	v_lshlrev_b32_e32 v8, 1, v4
	v_lshlrev_b32_e32 v4, 1, v2
	;; [unrolled: 1-line block ×5, first 2 shown]
	v_add_u32_e32 v77, 0x4800, v27
	ds_read2_b64 v[130:133], v76 offset1:32
	ds_read2_b64 v[42:45], v77 offset1:32
	ds_read2_b64 v[134:137], v76 offset0:64 offset1:96
	ds_read2_b64 v[66:69], v77 offset0:64 offset1:96
	;; [unrolled: 1-line block ×6, first 2 shown]
	ds_read_b128 v[86:89], v75
	ds_read_b128 v[38:41], v75 offset:512
	ds_read_b128 v[30:33], v75 offset:1024
	;; [unrolled: 1-line block ×7, first 2 shown]
	buffer_load_dwordx4 v[102:105], v3, s[12:15], 0 offen
	buffer_load_dwordx4 v[98:101], v6, s[12:15], 0 offen
                                        ; kill: killed $vgpr3
                                        ; kill: killed $vgpr6
	buffer_load_dwordx4 v[34:37], v4, s[12:15], 0 offen
	buffer_load_dwordx4 v[50:53], v2, s[12:15], 0 offen
	s_nop 0
	buffer_load_dwordx4 v[2:5], v5, s[24:27], 0 offen
	s_nop 0
	;; [unrolled: 2-line block ×4, first 2 shown]
	buffer_load_dwordx4 v[14:17], v14, s[24:27], 0 offen
	v_or_b32_e32 v74, 0x8000, v27
	v_accvgpr_write_b32 a108, 0
	v_accvgpr_write_b32 a107, 0
	;; [unrolled: 1-line block ×14, first 2 shown]
	s_waitcnt vmcnt(15)
	ds_write_b128 v71, v[18:21] offset:32768
	s_waitcnt vmcnt(14)
	ds_write_b128 v71, v[22:25] offset:32784
	;; [unrolled: 2-line block ×4, first 2 shown]
	v_accvgpr_write_b32 a110, 0
	s_waitcnt vmcnt(10)
	v_perm_b32 v18, v118, v114, s10
	v_perm_b32 v20, v118, v114, s21
	s_waitcnt vmcnt(8)
	v_perm_b32 v19, v126, v122, s10
	v_perm_b32 v21, v126, v122, s21
	;; [unrolled: 1-line block ×14, first 2 shown]
	ds_write_b128 v72, v[18:21] offset:49152
	ds_write_b128 v72, v[22:25] offset:49168
	;; [unrolled: 1-line block ×4, first 2 shown]
	v_accvgpr_write_b32 a27, 0
	v_accvgpr_write_b32 a26, 0
	;; [unrolled: 1-line block ×132, first 2 shown]
	v_mov_b32_e32 v169, 0
	v_mov_b32_e32 v168, 0
	;; [unrolled: 1-line block ×8, first 2 shown]
	v_accvgpr_write_b32 a223, 0
	v_accvgpr_write_b32 a222, 0
	;; [unrolled: 1-line block ×80, first 2 shown]
	s_mov_b32 s16, s22
	v_add_u32_e32 v80, 0x4000, v74
	v_add_u32_e32 v81, 0x4800, v74
	s_waitcnt lgkmcnt(14)
	v_mov_b32_e32 v106, v130
	v_mov_b32_e32 v107, v131
	;; [unrolled: 1-line block ×24, first 2 shown]
.LBB2_10:                               ; =>This Inner Loop Header: Depth=1
	v_accvgpr_read_b32 v210, a164
	v_accvgpr_read_b32 v213, a167
	;; [unrolled: 1-line block ×4, first 2 shown]
	v_add_u32_e32 v126, s23, v26
	v_add_u32_e32 v1, s8, v1
	v_accvgpr_write_b32 a0, v210
	v_accvgpr_read_b32 v150, a168
	v_lshlrev_b32_e32 v26, 1, v126
	v_lshlrev_b32_e32 v18, 1, v1
	v_accvgpr_write_b32 a1, v211
	v_accvgpr_write_b32 a2, v212
	;; [unrolled: 1-line block ×3, first 2 shown]
	v_accvgpr_read_b32 v153, a171
	v_accvgpr_read_b32 v152, a170
	;; [unrolled: 1-line block ×3, first 2 shown]
	v_accvgpr_mov_b32 a171, a179
	v_accvgpr_mov_b32 a170, a178
	v_accvgpr_mov_b32 a169, a177
	v_accvgpr_mov_b32 a168, a176
	v_accvgpr_mov_b32 a179, a187
	v_accvgpr_mov_b32 a178, a186
	v_accvgpr_mov_b32 a177, a185
	v_accvgpr_mov_b32 a176, a184
	s_waitcnt lgkmcnt(0)
	v_mfma_f32_16x16x32_f16 a[130:133], v[86:89], v[106:109], a[130:133]
	s_barrier
	ds_read_b128 v[22:25], v73
	v_accvgpr_read_b32 v202, a192
	v_mfma_f32_16x16x32_f16 a[134:137], v[86:89], v[42:45], a[134:137]
	s_waitcnt vmcnt(7)
	ds_write_b128 v71, v[102:105]
	v_accvgpr_mov_b32 a167, a175
	v_accvgpr_mov_b32 a166, a174
	v_mfma_f32_16x16x32_f16 a[138:141], v[86:89], v[110:113], a[140:143]
	buffer_load_dwordx4 v[26:29], v26, s[12:15], 0 offen
	v_accvgpr_mov_b32 a165, a173
	v_accvgpr_mov_b32 a164, a172
	v_mfma_f32_16x16x32_f16 a[152:155], v[86:89], v[66:69], a[152:155]
	v_accvgpr_mov_b32 a175, a183
	v_accvgpr_mov_b32 a174, a182
	;; [unrolled: 1-line block ×3, first 2 shown]
	v_mfma_f32_16x16x32_f16 a[144:147], v[86:89], v[114:117], a[144:147]
	v_accvgpr_mov_b32 a172, a180
	v_accvgpr_mov_b32 a183, a191
	;; [unrolled: 1-line block ×3, first 2 shown]
	v_mfma_f32_16x16x32_f16 a[148:151], v[86:89], v[90:93], a[148:151]
	ds_read2_b64 v[102:105], v80 offset1:32
	v_accvgpr_mov_b32 a181, a189
	v_accvgpr_mov_b32 a180, a188
	v_mfma_f32_16x16x32_f16 a[156:159], v[86:89], v[118:121], a[156:159]
	s_waitcnt vmcnt(7)
	ds_write_b128 v71, v[98:101] offset:16
	v_accvgpr_read_b32 v205, a195
	v_accvgpr_read_b32 v204, a194
	v_mfma_f32_16x16x32_f16 a[160:163], v[86:89], v[94:97], a[160:163]
	buffer_load_dwordx4 v[18:21], v18, s[16:19], 0 offen
	v_accvgpr_read_b32 v203, a193
	v_accvgpr_mov_b32 a191, a199
	v_mfma_f32_16x16x32_f16 a[184:187], v[38:41], v[106:109], a[0:3]
	v_accvgpr_mov_b32 a190, a198
	v_accvgpr_mov_b32 a189, a197
	;; [unrolled: 1-line block ×3, first 2 shown]
	v_accvgpr_write_b32 a0, v150
	v_accvgpr_write_b32 a1, v151
	;; [unrolled: 1-line block ×4, first 2 shown]
	v_add_u32_e32 v86, s1, v126
	v_accvgpr_mov_b32 a195, a203
	v_mfma_f32_16x16x32_f16 a[196:199], v[38:41], v[42:45], a[0:3]
	v_accvgpr_mov_b32 a194, a202
	v_accvgpr_mov_b32 a193, a201
	v_accvgpr_mov_b32 a192, a200
	v_accvgpr_write_b32 a0, v202
	v_accvgpr_read_b32 v209, a211
	v_accvgpr_read_b32 v208, a210
	;; [unrolled: 1-line block ×4, first 2 shown]
	v_mov_b64_e32 v[196:197], v[164:165]
	v_mfma_f32_16x16x32_f16 a[200:203], v[38:41], v[110:113], a[164:167]
	ds_read2_b64 v[150:153], v81 offset1:32
	v_accvgpr_write_b32 a1, v203
	v_accvgpr_write_b32 a2, v204
	v_mfma_f32_16x16x32_f16 a[208:211], v[38:41], v[66:69], a[168:171]
	s_waitcnt vmcnt(7)
	ds_write_b128 v71, v[34:37] offset:32
	v_lshlrev_b32_e32 v34, 1, v86
	v_accvgpr_write_b32 a3, v205
	v_mov_b64_e32 v[194:195], v[162:163]
	v_accvgpr_read_b32 v185, a227
	v_accvgpr_read_b32 v184, a226
	;; [unrolled: 1-line block ×16, first 2 shown]
	v_mfma_f32_16x16x32_f16 a[212:215], v[38:41], v[114:117], a[172:175]
	buffer_load_dwordx4 v[34:37], v34, s[12:15], 0 offen
	v_add_u32_e32 v86, s1, v86
	v_accvgpr_read_b32 v177, a207
	v_mfma_f32_16x16x32_f16 a[216:219], v[38:41], v[90:93], a[176:179]
	v_accvgpr_read_b32 v176, a206
	v_accvgpr_read_b32 v175, a205
	;; [unrolled: 1-line block ×3, first 2 shown]
	v_mfma_f32_16x16x32_f16 a[224:227], v[38:41], v[118:121], a[180:183]
	v_accvgpr_read_b32 v170, a236
	v_accvgpr_read_b32 v173, a239
	;; [unrolled: 1-line block ×3, first 2 shown]
	v_mfma_f32_16x16x32_f16 a[228:231], v[38:41], v[94:97], a[0:3]
	ds_read2_b64 v[98:101], v80 offset0:64 offset1:96
	v_lshlrev_b32_e32 v38, 1, v86
	v_accvgpr_read_b32 v171, a237
	v_mfma_f32_16x16x32_f16 a[0:3], v[30:33], v[106:109], a[188:191]
	s_waitcnt vmcnt(7)
	ds_write_b128 v71, v[50:53] offset:48
	s_waitcnt vmcnt(5)
	v_perm_b32 v50, v6, v2, s10
	v_perm_b32 v52, v6, v2, s21
	s_waitcnt vmcnt(3)
	v_perm_b32 v51, v14, v10, s10
	v_perm_b32 v53, v14, v10, s21
	v_add_u32_e32 v10, s1, v86
	v_lshlrev_b32_e32 v2, 1, v10
	v_add_u32_e32 v1, s7, v1
	v_accvgpr_read_b32 v205, a3
	v_accvgpr_read_b32 v204, a2
	;; [unrolled: 1-line block ×4, first 2 shown]
	v_mfma_f32_16x16x32_f16 a[0:3], v[30:33], v[42:45], a[192:195]
	buffer_load_dwordx4 v[38:41], v38, s[12:15], 0 offen
	v_accvgpr_read_b32 v158, a240
	v_accvgpr_read_b32 v161, a243
	;; [unrolled: 1-line block ×11, first 2 shown]
	v_accvgpr_write_b32 a0, v206
	v_accvgpr_write_b32 a1, v207
	;; [unrolled: 1-line block ×4, first 2 shown]
	v_accvgpr_read_b32 v155, a99
	v_accvgpr_read_b32 v125, a251
	v_mfma_f32_16x16x32_f16 a[0:3], v[30:33], v[110:113], a[0:3]
	v_accvgpr_read_b32 v124, a250
	v_accvgpr_read_b32 v123, a249
	;; [unrolled: 1-line block ×3, first 2 shown]
	v_perm_b32 v86, v8, v4, s10
	v_perm_b32 v88, v8, v4, s21
	;; [unrolled: 1-line block ×5, first 2 shown]
	v_accvgpr_read_b32 v209, a3
	v_accvgpr_read_b32 v208, a2
	;; [unrolled: 1-line block ×4, first 2 shown]
	v_accvgpr_write_b32 a0, v166
	v_accvgpr_write_b32 a1, v167
	;; [unrolled: 1-line block ×4, first 2 shown]
	v_accvgpr_read_b32 v146, a114
	v_accvgpr_read_b32 v149, a117
	v_mfma_f32_16x16x32_f16 a[0:3], v[30:33], v[66:69], a[0:3]
	v_accvgpr_read_b32 v148, a116
	v_accvgpr_read_b32 v147, a115
	;; [unrolled: 1-line block ×12, first 2 shown]
	v_accvgpr_write_b32 a0, v194
	v_accvgpr_write_b32 a1, v195
	;; [unrolled: 1-line block ×4, first 2 shown]
	v_accvgpr_read_b32 v140, a108
	v_accvgpr_read_b32 v139, a107
	v_mfma_f32_16x16x32_f16 a[204:207], v[30:33], v[114:117], a[0:3]
	ds_read2_b64 v[194:197], v81 offset0:64 offset1:96
	v_accvgpr_read_b32 v134, a102
	v_accvgpr_read_b32 v137, a105
	v_accvgpr_write_b32 a0, v182
	v_accvgpr_write_b32 a1, v183
	;; [unrolled: 1-line block ×4, first 2 shown]
	v_mfma_f32_16x16x32_f16 a[220:223], v[30:33], v[90:93], a[220:223]
	ds_write_b128 v72, v[50:53] offset:16384
	v_accvgpr_read_b32 v136, a104
	v_accvgpr_read_b32 v135, a103
	v_mfma_f32_16x16x32_f16 a[0:3], v[30:33], v[118:121], a[0:3]
	buffer_load_dwordx4 v[50:53], v2, s[12:15], 0 offen
	v_lshlrev_b32_e32 v2, 1, v1
	v_add_u32_e32 v1, s7, v1
	v_accvgpr_read_b32 v130, a122
	v_accvgpr_read_b32 v133, a125
	;; [unrolled: 1-line block ×9, first 2 shown]
	v_accvgpr_write_b32 a0, v190
	v_accvgpr_write_b32 a1, v191
	;; [unrolled: 1-line block ×4, first 2 shown]
	v_accvgpr_read_b32 v129, a129
	v_accvgpr_read_b32 v128, a128
	v_mfma_f32_16x16x32_f16 a[0:3], v[30:33], v[94:97], a[0:3]
	v_perm_b32 v30, v7, v3, s10
	v_perm_b32 v32, v7, v3, s21
	;; [unrolled: 1-line block ×5, first 2 shown]
	v_accvgpr_read_b32 v127, a127
	v_mfma_f32_16x16x32_f16 a[252:255], v[82:85], v[94:97], a[252:255]
	v_add_u32_e32 v10, s23, v10
	v_accvgpr_read_b32 v189, a3
	v_accvgpr_read_b32 v188, a2
	;; [unrolled: 1-line block ×4, first 2 shown]
	v_accvgpr_write_b32 a0, v178
	v_accvgpr_write_b32 a1, v179
	;; [unrolled: 1-line block ×4, first 2 shown]
	; sched_group_barrier mask(0x00000008) size(1) SyncID(0)
	; sched_group_barrier mask(0x00000100) size(1) SyncID(0)
	;; [unrolled: 1-line block ×34, first 2 shown]
	s_nop 1
	v_mfma_f32_16x16x32_f16 a[0:3], v[46:49], v[106:109], a[0:3]
	; sched_group_barrier mask(0x00000008) size(2) SyncID(0)
	s_nop 7
	v_accvgpr_read_b32 v193, a3
	v_accvgpr_read_b32 v192, a2
	;; [unrolled: 1-line block ×4, first 2 shown]
	v_accvgpr_write_b32 a0, v174
	v_accvgpr_write_b32 a1, v175
	;; [unrolled: 1-line block ×4, first 2 shown]
	s_nop 1
	v_mfma_f32_16x16x32_f16 a[0:3], v[46:49], v[42:45], a[0:3]
	ds_read2_b64 v[174:177], v80 offset0:128 offset1:160
	; sched_group_barrier mask(0x00000008) size(1) SyncID(0)
	; sched_group_barrier mask(0x00000100) size(1) SyncID(0)
	v_mfma_f32_16x16x32_f16 a[232:235], v[46:49], v[110:113], a[232:235]
	ds_write_b128 v72, v[30:33] offset:16400
	; sched_group_barrier mask(0x00000008) size(1) SyncID(0)
	; sched_group_barrier mask(0x00000200) size(1) SyncID(0)
	s_nop 4
	v_accvgpr_read_b32 v181, a3
	v_accvgpr_read_b32 v180, a2
	;; [unrolled: 1-line block ×4, first 2 shown]
	v_accvgpr_write_b32 a0, v162
	v_accvgpr_write_b32 a1, v163
	;; [unrolled: 1-line block ×4, first 2 shown]
	s_nop 1
	v_mfma_f32_16x16x32_f16 a[236:239], v[46:49], v[66:69], a[0:3]
	buffer_load_dwordx4 v[30:33], v2, s[16:19], 0 offen
	v_lshlrev_b32_e32 v2, 1, v1
	v_add_u32_e32 v1, s7, v1
	v_accvgpr_write_b32 a0, v170
	v_accvgpr_write_b32 a1, v171
	;; [unrolled: 1-line block ×4, first 2 shown]
	; sched_group_barrier mask(0x00000008) size(1) SyncID(0)
	; sched_group_barrier mask(0x00000020) size(1) SyncID(0)
	s_nop 1
	v_mfma_f32_16x16x32_f16 a[240:243], v[46:49], v[114:117], a[0:3]
	s_nop 2
	v_accvgpr_write_b32 a0, v158
	v_accvgpr_write_b32 a1, v159
	;; [unrolled: 1-line block ×4, first 2 shown]
	s_nop 1
	v_mfma_f32_16x16x32_f16 a[98:101], v[46:49], v[90:93], a[0:3]
	; sched_group_barrier mask(0x00000008) size(2) SyncID(0)
	v_mfma_f32_16x16x32_f16 a[244:247], v[46:49], v[118:121], a[244:247]
	s_nop 1
	v_accvgpr_write_b32 a0, v154
	v_accvgpr_write_b32 a1, v155
	;; [unrolled: 1-line block ×4, first 2 shown]
	ds_read2_b64 v[158:161], v81 offset0:128 offset1:160
	; sched_group_barrier mask(0x00000008) size(1) SyncID(0)
	; sched_group_barrier mask(0x00000100) size(1) SyncID(0)
	s_nop 0
	v_mfma_f32_16x16x32_f16 a[248:251], v[46:49], v[94:97], a[0:3]
	ds_write_b128 v72, v[86:89] offset:16416
	; sched_group_barrier mask(0x00000008) size(1) SyncID(0)
	; sched_group_barrier mask(0x00000200) size(1) SyncID(0)
	v_mfma_f32_16x16x32_f16 a[94:97], v[62:65], v[106:109], a[94:97]
	s_nop 0
	v_accvgpr_mov_b32 a0, a4
	v_accvgpr_mov_b32 a1, a5
	;; [unrolled: 1-line block ×4, first 2 shown]
	buffer_load_dwordx4 v[46:49], v2, s[16:19], 0 offen
	v_perm_b32 v2, v9, v5, s10
	v_perm_b32 v5, v17, v13, s21
	v_mfma_f32_16x16x32_f16 a[4:7], v[62:65], v[42:45], a[0:3]
	; sched_group_barrier mask(0x00000008) size(1) SyncID(0)
	; sched_group_barrier mask(0x00000020) size(1) SyncID(0)
	v_mfma_f32_16x16x32_f16 a[90:93], v[62:65], v[110:113], a[90:93]
	s_nop 1
	v_accvgpr_mov_b32 a0, a20
	v_accvgpr_mov_b32 a1, a21
	;; [unrolled: 1-line block ×3, first 2 shown]
	v_mfma_f32_16x16x32_f16 a[8:11], v[62:65], v[66:69], a[8:11]
	ds_read2_b64 v[162:165], v80 offset0:192 offset1:224
	v_accvgpr_mov_b32 a3, a23
	; sched_group_barrier mask(0x00000008) size(2) SyncID(0)
	; sched_group_barrier mask(0x00000008) size(1) SyncID(0)
	;; [unrolled: 1-line block ×3, first 2 shown]
	v_mfma_f32_16x16x32_f16 a[12:15], v[62:65], v[114:117], a[12:15]
	ds_write_b128 v72, v[2:5] offset:16432
	v_lshlrev_b32_e32 v2, 1, v1
	v_add_u32_e32 v1, s8, v1
	v_mfma_f32_16x16x32_f16 a[16:19], v[62:65], v[90:93], a[16:19]
	buffer_load_dwordx4 v[12:15], v2, s[16:19], 0 offen
	; sched_group_barrier mask(0x00000008) size(1) SyncID(0)
	; sched_group_barrier mask(0x00000200) size(1) SyncID(0)
	;; [unrolled: 1-line block ×4, first 2 shown]
	v_mfma_f32_16x16x32_f16 a[20:23], v[62:65], v[118:121], a[0:3]
	s_nop 2
	v_accvgpr_write_b32 a0, v146
	v_accvgpr_write_b32 a1, v147
	;; [unrolled: 1-line block ×4, first 2 shown]
	v_mfma_f32_16x16x32_f16 a[86:89], v[62:65], v[94:97], a[86:89]
	; sched_group_barrier mask(0x00000008) size(2) SyncID(0)
	v_mfma_f32_16x16x32_f16 a[82:85], v[58:61], v[106:109], a[82:85]
	ds_read2_b64 v[154:157], v81 offset0:192 offset1:224
	; sched_group_barrier mask(0x00000008) size(1) SyncID(0)
	; sched_group_barrier mask(0x00000100) size(1) SyncID(0)
	v_mfma_f32_16x16x32_f16 a[78:81], v[58:61], v[42:45], a[78:81]
	; sched_group_barrier mask(0x00000008) size(1) SyncID(0)
	; sched_group_barrier mask(0x00000200) size(1) SyncID(0)
	v_mfma_f32_16x16x32_f16 a[74:77], v[58:61], v[110:113], a[74:77]
	;; [unrolled: 3-line block ×3, first 2 shown]
	v_mfma_f32_16x16x32_f16 a[66:69], v[58:61], v[114:117], a[66:69]
	; sched_group_barrier mask(0x00000008) size(2) SyncID(0)
	v_mfma_f32_16x16x32_f16 a[62:65], v[58:61], v[90:93], a[62:65]
	ds_read_b128 v[2:5], v73 offset:512
	; sched_group_barrier mask(0x00000008) size(1) SyncID(0)
	; sched_group_barrier mask(0x00000100) size(1) SyncID(0)
	v_mfma_f32_16x16x32_f16 a[58:61], v[58:61], v[118:121], a[58:61]
	; sched_group_barrier mask(0x00000008) size(1) SyncID(0)
	; sched_group_barrier mask(0x00000200) size(1) SyncID(0)
	v_mfma_f32_16x16x32_f16 a[54:57], v[58:61], v[94:97], a[54:57]
	ds_read_b128 v[58:61], v73 offset:2560
	; sched_group_barrier mask(0x00000008) size(1) SyncID(0)
	; sched_group_barrier mask(0x00000020) size(1) SyncID(0)
	v_mfma_f32_16x16x32_f16 a[50:53], v[54:57], v[106:109], a[50:53]
	v_mfma_f32_16x16x32_f16 a[46:49], v[54:57], v[42:45], a[46:49]
	; sched_group_barrier mask(0x00000008) size(2) SyncID(0)
	v_mfma_f32_16x16x32_f16 a[42:45], v[54:57], v[110:113], a[42:45]
	ds_read_b128 v[6:9], v73 offset:1024
	; sched_group_barrier mask(0x00000008) size(1) SyncID(0)
	; sched_group_barrier mask(0x00000100) size(1) SyncID(0)
	v_mfma_f32_16x16x32_f16 a[38:41], v[54:57], v[66:69], a[38:41]
	; sched_group_barrier mask(0x00000008) size(1) SyncID(0)
	; sched_group_barrier mask(0x00000200) size(1) SyncID(0)
	v_mfma_f32_16x16x32_f16 a[34:37], v[54:57], v[114:117], a[34:37]
	;; [unrolled: 3-line block ×3, first 2 shown]
	v_mfma_f32_16x16x32_f16 a[26:29], v[54:57], v[118:121], a[24:27]
	; sched_group_barrier mask(0x00000008) size(2) SyncID(0)
	v_mfma_f32_16x16x32_f16 a[110:113], v[54:57], v[94:97], a[110:113]
	ds_read_b128 v[62:65], v73 offset:1536
	ds_read_b128 v[54:57], v73 offset:3072
	; sched_group_barrier mask(0x00000008) size(1) SyncID(0)
	; sched_group_barrier mask(0x00000100) size(1) SyncID(0)
	v_mfma_f32_16x16x32_f16 a[114:117], v[82:85], v[106:109], a[0:3]
	; sched_group_barrier mask(0x00000008) size(1) SyncID(0)
	; sched_group_barrier mask(0x00000200) size(1) SyncID(0)
	s_nop 2
	v_accvgpr_write_b32 a0, v142
	v_accvgpr_write_b32 a1, v143
	;; [unrolled: 1-line block ×4, first 2 shown]
	s_nop 1
	v_mfma_f32_16x16x32_f16 a[118:121], v[82:85], v[42:45], a[0:3]
	ds_read_b128 v[42:45], v73 offset:3584
	; sched_group_barrier mask(0x00000008) size(1) SyncID(0)
	; sched_group_barrier mask(0x00000020) size(1) SyncID(0)
	s_nop 1
	v_accvgpr_write_b32 a0, v138
	v_accvgpr_write_b32 a1, v139
	;; [unrolled: 1-line block ×4, first 2 shown]
	s_nop 1
	v_mfma_f32_16x16x32_f16 a[106:109], v[82:85], v[110:113], a[0:3]
	s_nop 2
	v_accvgpr_write_b32 a0, v134
	v_accvgpr_write_b32 a1, v135
	;; [unrolled: 1-line block ×4, first 2 shown]
	s_nop 1
	v_mfma_f32_16x16x32_f16 a[102:105], v[82:85], v[66:69], a[0:3]
	ds_read_b128 v[66:69], v73 offset:2048
	; sched_group_barrier mask(0x00000008) size(2) SyncID(0)
	s_nop 1
	v_accvgpr_write_b32 a0, v130
	v_accvgpr_write_b32 a1, v131
	v_accvgpr_write_b32 a2, v132
	v_accvgpr_write_b32 a3, v133
	s_nop 1
	v_mfma_f32_16x16x32_f16 a[122:125], v[82:85], v[114:117], a[0:3]
	s_nop 2
	v_accvgpr_write_b32 a0, v126
	v_accvgpr_write_b32 a1, v127
	v_accvgpr_write_b32 a2, v128
	v_accvgpr_write_b32 a3, v129
	s_nop 1
	v_mfma_f32_16x16x32_f16 a[126:129], v[82:85], v[90:93], a[0:3]
	;; [unrolled: 7-line block ×3, first 2 shown]
	; sched_barrier mask(0x00000000)
	s_waitcnt lgkmcnt(14)
	v_mov_b32_e32 v82, v102
	v_mov_b32_e32 v83, v103
	;; [unrolled: 1-line block ×6, first 2 shown]
	v_lshlrev_b32_e32 v11, 1, v10
	v_mov_b32_e32 v90, v98
	v_mov_b32_e32 v91, v99
	;; [unrolled: 1-line block ×4, first 2 shown]
	v_add_u32_e32 v10, s1, v10
	s_waitcnt lgkmcnt(0)
	s_barrier
	v_mfma_f32_16x16x32_f16 a[130:133], v[22:25], v[82:85], a[130:133]
	ds_read_b128 v[86:89], v75
	v_mov_b32_e32 v194, v100
	v_mov_b32_e32 v195, v101
	v_mfma_f32_16x16x32_f16 a[134:137], v[22:25], v[150:153], a[134:137]
	s_waitcnt vmcnt(7)
	ds_write_b128 v78, v[26:29]
	v_mov_b32_e32 v94, v174
	v_mov_b32_e32 v95, v175
	v_mfma_f32_16x16x32_f16 a[140:143], v[22:25], v[90:93], a[138:141]
	buffer_load_dwordx4 v[102:105], v11, s[12:15], 0 offen
	v_mov_b32_e32 v96, v158
	v_mov_b32_e32 v97, v159
	;; [unrolled: 1-line block ×10, first 2 shown]
	v_lshlrev_b32_e32 v11, 1, v10
	v_add_u32_e32 v10, s1, v10
	v_mfma_f32_16x16x32_f16 a[152:155], v[22:25], v[194:197], a[152:155]
	v_add_u32_e32 v26, s1, v10
	s_waitcnt vmcnt(3)
	v_perm_b32 v16, v33, v21, s10
	s_waitcnt vmcnt(1)
	v_perm_b32 v17, v15, v49, s10
	v_mfma_f32_16x16x32_f16 a[144:147], v[22:25], v[94:97], a[144:147]
	; sched_group_barrier mask(0x00000008) size(1) SyncID(0)
	; sched_group_barrier mask(0x00000100) size(1) SyncID(0)
	;; [unrolled: 1-line block ×7, first 2 shown]
	v_mfma_f32_16x16x32_f16 a[148:151], v[22:25], v[158:161], a[148:151]
	ds_read2_b64 v[130:133], v76 offset1:32
	; sched_group_barrier mask(0x00000008) size(1) SyncID(0)
	; sched_group_barrier mask(0x00000100) size(1) SyncID(0)
	v_mfma_f32_16x16x32_f16 a[156:159], v[22:25], v[106:109], a[156:159]
	ds_write_b128 v78, v[34:37] offset:16
	; sched_group_barrier mask(0x00000008) size(1) SyncID(0)
	; sched_group_barrier mask(0x00000200) size(1) SyncID(0)
	v_mfma_f32_16x16x32_f16 a[160:163], v[22:25], v[154:157], a[160:163]
	buffer_load_dwordx4 v[98:101], v11, s[12:15], 0 offen
	v_lshlrev_b32_e32 v11, 1, v10
	v_perm_b32 v10, v32, v20, s10
	v_mfma_f32_16x16x32_f16 a[164:167], v[2:5], v[82:85], a[184:187]
	; sched_group_barrier mask(0x00000008) size(1) SyncID(0)
	; sched_group_barrier mask(0x00000020) size(1) SyncID(0)
	v_mfma_f32_16x16x32_f16 a[168:171], v[2:5], v[150:153], a[196:199]
	; sched_group_barrier mask(0x00000008) size(2) SyncID(0)
	v_mfma_f32_16x16x32_f16 a[172:175], v[2:5], v[90:93], a[200:203]
	ds_read2_b64 v[22:25], v77 offset1:32
	s_nop 0
	v_accvgpr_write_b32 a196, v202
	v_accvgpr_write_b32 a197, v203
	v_mfma_f32_16x16x32_f16 a[176:179], v[2:5], v[194:197], a[208:211]
	ds_write_b128 v78, v[38:41] offset:32
	v_accvgpr_write_b32 a200, v210
	v_accvgpr_write_b32 a198, v204
	v_mfma_f32_16x16x32_f16 a[180:183], v[2:5], v[94:97], a[212:215]
	v_accvgpr_write_b32 a211, v209
	buffer_load_dwordx4 v[34:37], v11, s[12:15], 0 offen
	v_accvgpr_write_b32 a199, v205
	v_accvgpr_write_b32 a215, v201
	v_mfma_f32_16x16x32_f16 a[184:187], v[2:5], v[158:161], a[216:219]
	v_accvgpr_write_b32 a201, v211
	v_accvgpr_write_b32 a202, v212
	;; [unrolled: 1-line block ×3, first 2 shown]
	v_mfma_f32_16x16x32_f16 a[188:191], v[2:5], v[106:109], a[224:227]
	v_accvgpr_write_b32 a210, v208
	v_accvgpr_write_b32 a209, v207
	;; [unrolled: 1-line block ×3, first 2 shown]
	v_mfma_f32_16x16x32_f16 a[192:195], v[2:5], v[154:157], a[228:231]
	v_lshlrev_b32_e32 v2, 1, v26
	v_accvgpr_write_b32 a214, v200
	v_accvgpr_write_b32 a213, v199
	;; [unrolled: 1-line block ×3, first 2 shown]
	ds_read2_b64 v[134:137], v76 offset0:64 offset1:96
	v_mfma_f32_16x16x32_f16 a[196:199], v[6:9], v[82:85], a[196:199]
	ds_write_b128 v78, v[50:53] offset:48
	v_accvgpr_write_b32 a219, v185
	v_perm_b32 v4, v30, v18, s21
	v_mfma_f32_16x16x32_f16 a[200:203], v[6:9], v[150:153], a[200:203]
	buffer_load_dwordx4 v[50:53], v2, s[12:15], 0 offen
	v_perm_b32 v2, v30, v18, s10
	v_perm_b32 v3, v12, v46, s10
	v_mfma_f32_16x16x32_f16 a[208:211], v[6:9], v[90:93], a[208:211]
	v_perm_b32 v5, v12, v46, s21
	v_accvgpr_write_b32 a218, v184
	v_accvgpr_write_b32 a217, v183
	v_mfma_f32_16x16x32_f16 a[212:215], v[6:9], v[194:197], a[212:215]
	v_accvgpr_write_b32 a216, v182
	v_accvgpr_write_b32 a231, v193
	;; [unrolled: 1-line block ×3, first 2 shown]
	v_mfma_f32_16x16x32_f16 a[204:207], v[6:9], v[94:97], a[204:207]
	ds_read2_b64 v[122:125], v77 offset0:64 offset1:96
	v_accvgpr_write_b32 a229, v191
	v_accvgpr_write_b32 a228, v190
	v_mfma_f32_16x16x32_f16 a[220:223], v[6:9], v[158:161], a[220:223]
	ds_write_b128 v79, v[2:5] offset:16384
	v_lshlrev_b32_e32 v2, 1, v1
	v_add_u32_e32 v1, s7, v1
	v_mfma_f32_16x16x32_f16 a[224:227], v[6:9], v[106:109], a[216:219]
	v_accvgpr_read_b32 v162, a204
	v_accvgpr_read_b32 v163, a205
	;; [unrolled: 1-line block ×3, first 2 shown]
	v_accvgpr_write_b32 a219, v189
	v_accvgpr_write_b32 a218, v188
	;; [unrolled: 1-line block ×4, first 2 shown]
	v_accvgpr_read_b32 v165, a207
	v_accvgpr_write_b32 a207, v181
	buffer_load_dwordx4 v[2:5], v2, s[16:19], 0 offen
	v_mfma_f32_16x16x32_f16 a[216:219], v[6:9], v[154:157], a[216:219]
	v_accvgpr_write_b32 a206, v180
	v_accvgpr_write_b32 a205, v179
	;; [unrolled: 1-line block ×3, first 2 shown]
	v_perm_b32 v6, v31, v19, s10
	v_perm_b32 v8, v31, v19, s21
	;; [unrolled: 1-line block ×4, first 2 shown]
	v_mfma_f32_16x16x32_f16 a[228:231], v[62:65], v[82:85], a[228:231]
	v_accvgpr_read_b32 v166, a212
	v_perm_b32 v12, v32, v20, s21
	v_perm_b32 v11, v14, v48, s10
	v_mfma_f32_16x16x32_f16 a[204:207], v[62:65], v[150:153], a[204:207]
	ds_read2_b64 v[138:141], v76 offset0:128 offset1:160
	v_perm_b32 v13, v14, v48, s21
	v_accvgpr_read_b32 v167, a213
	v_mfma_f32_16x16x32_f16 a[232:235], v[62:65], v[90:93], a[232:235]
	ds_write_b128 v79, v[6:9] offset:16400
	v_lshlrev_b32_e32 v6, 1, v1
	v_add_u32_e32 v1, s7, v1
	v_accvgpr_read_b32 v168, a214
	v_accvgpr_read_b32 v169, a215
	v_mfma_f32_16x16x32_f16 a[212:215], v[62:65], v[194:197], a[236:239]
	buffer_load_dwordx4 v[6:9], v6, s[16:19], 0 offen
	v_perm_b32 v18, v33, v21, s21
	v_perm_b32 v19, v15, v49, s21
	v_mfma_f32_16x16x32_f16 a[236:239], v[62:65], v[94:97], a[240:243]
	; sched_group_barrier mask(0x00000008) size(1) SyncID(0)
	; sched_group_barrier mask(0x00000100) size(1) SyncID(0)
	;; [unrolled: 1-line block ×27, first 2 shown]
	v_mfma_f32_16x16x32_f16 a[240:243], v[62:65], v[158:161], a[98:101]
	; sched_group_barrier mask(0x00000008) size(2) SyncID(0)
	v_mfma_f32_16x16x32_f16 a[244:247], v[62:65], v[106:109], a[244:247]
	ds_read2_b64 v[126:129], v77 offset0:128 offset1:160
	; sched_group_barrier mask(0x00000008) size(1) SyncID(0)
	; sched_group_barrier mask(0x00000100) size(1) SyncID(0)
	v_mfma_f32_16x16x32_f16 a[98:101], v[62:65], v[154:157], a[248:251]
	ds_write_b128 v79, v[10:13] offset:16416
	v_lshlrev_b32_e32 v10, 1, v1
	v_add_u32_e32 v1, s7, v1
	v_lshlrev_b32_e32 v14, 1, v1
	v_mfma_f32_16x16x32_f16 a[94:97], v[66:69], v[82:85], a[94:97]
	buffer_load_dwordx4 v[10:13], v10, s[16:19], 0 offen
	ds_read_b128 v[62:65], v75 offset:2048
	; sched_group_barrier mask(0x00000008) size(1) SyncID(0)
	; sched_group_barrier mask(0x00000200) size(1) SyncID(0)
	;; [unrolled: 1-line block ×4, first 2 shown]
	v_mfma_f32_16x16x32_f16 a[4:7], v[66:69], v[150:153], a[4:7]
	v_mfma_f32_16x16x32_f16 a[90:93], v[66:69], v[90:93], a[90:93]
	; sched_group_barrier mask(0x00000008) size(2) SyncID(0)
	v_mfma_f32_16x16x32_f16 a[8:11], v[66:69], v[194:197], a[8:11]
	ds_read2_b64 v[142:145], v76 offset0:192 offset1:224
	; sched_group_barrier mask(0x00000008) size(1) SyncID(0)
	; sched_group_barrier mask(0x00000100) size(1) SyncID(0)
	v_mfma_f32_16x16x32_f16 a[12:15], v[66:69], v[94:97], a[12:15]
	ds_write_b128 v79, v[16:19] offset:16432
	; sched_group_barrier mask(0x00000008) size(1) SyncID(0)
	; sched_group_barrier mask(0x00000200) size(1) SyncID(0)
	v_mfma_f32_16x16x32_f16 a[16:19], v[66:69], v[158:161], a[16:19]
	buffer_load_dwordx4 v[14:17], v14, s[16:19], 0 offen
	; sched_group_barrier mask(0x00000008) size(1) SyncID(0)
	; sched_group_barrier mask(0x00000020) size(1) SyncID(0)
	v_mfma_f32_16x16x32_f16 a[20:23], v[66:69], v[106:109], a[20:23]
	v_mfma_f32_16x16x32_f16 a[86:89], v[66:69], v[154:157], a[86:89]
	; sched_group_barrier mask(0x00000008) size(2) SyncID(0)
	v_mfma_f32_16x16x32_f16 a[82:85], v[58:61], v[82:85], a[82:85]
	ds_read2_b64 v[18:21], v77 offset0:192 offset1:224
	; sched_group_barrier mask(0x00000008) size(1) SyncID(0)
	; sched_group_barrier mask(0x00000100) size(1) SyncID(0)
	v_mfma_f32_16x16x32_f16 a[78:81], v[58:61], v[150:153], a[78:81]
	; sched_group_barrier mask(0x00000008) size(1) SyncID(0)
	; sched_group_barrier mask(0x00000200) size(1) SyncID(0)
	v_mfma_f32_16x16x32_f16 a[74:77], v[58:61], v[90:93], a[74:77]
	;; [unrolled: 3-line block ×3, first 2 shown]
	v_mfma_f32_16x16x32_f16 a[66:69], v[58:61], v[94:97], a[66:69]
	; sched_group_barrier mask(0x00000008) size(2) SyncID(0)
	v_mfma_f32_16x16x32_f16 a[62:65], v[58:61], v[158:161], a[62:65]
	ds_read_b128 v[38:41], v75 offset:512
	; sched_group_barrier mask(0x00000008) size(1) SyncID(0)
	; sched_group_barrier mask(0x00000100) size(1) SyncID(0)
	v_mfma_f32_16x16x32_f16 a[58:61], v[58:61], v[106:109], a[58:61]
	; sched_group_barrier mask(0x00000008) size(1) SyncID(0)
	; sched_group_barrier mask(0x00000200) size(1) SyncID(0)
	v_mfma_f32_16x16x32_f16 a[54:57], v[58:61], v[154:157], a[54:57]
	ds_read_b128 v[58:61], v75 offset:2560
	; sched_group_barrier mask(0x00000008) size(1) SyncID(0)
	; sched_group_barrier mask(0x00000020) size(1) SyncID(0)
	v_mfma_f32_16x16x32_f16 a[50:53], v[54:57], v[82:85], a[50:53]
	v_mfma_f32_16x16x32_f16 a[46:49], v[54:57], v[150:153], a[46:49]
	; sched_group_barrier mask(0x00000008) size(2) SyncID(0)
	v_mfma_f32_16x16x32_f16 a[42:45], v[54:57], v[90:93], a[42:45]
	ds_read_b128 v[30:33], v75 offset:1024
	; sched_group_barrier mask(0x00000008) size(1) SyncID(0)
	; sched_group_barrier mask(0x00000100) size(1) SyncID(0)
	v_mfma_f32_16x16x32_f16 a[38:41], v[54:57], v[194:197], a[38:41]
	; sched_group_barrier mask(0x00000008) size(1) SyncID(0)
	; sched_group_barrier mask(0x00000200) size(1) SyncID(0)
	v_mfma_f32_16x16x32_f16 a[34:37], v[54:57], v[94:97], a[34:37]
	;; [unrolled: 3-line block ×3, first 2 shown]
	v_mfma_f32_16x16x32_f16 a[24:27], v[54:57], v[106:109], a[26:29]
	; sched_group_barrier mask(0x00000008) size(2) SyncID(0)
	v_mfma_f32_16x16x32_f16 a[110:113], v[54:57], v[154:157], a[110:113]
	ds_read_b128 v[46:49], v75 offset:1536
	ds_read_b128 v[54:57], v75 offset:3072
	; sched_group_barrier mask(0x00000008) size(1) SyncID(0)
	; sched_group_barrier mask(0x00000100) size(1) SyncID(0)
	v_mfma_f32_16x16x32_f16 a[114:117], v[42:45], v[82:85], a[114:117]
	ds_read_b128 v[82:85], v75 offset:3584
	; sched_group_barrier mask(0x00000008) size(1) SyncID(0)
	; sched_group_barrier mask(0x00000200) size(1) SyncID(0)
	v_mfma_f32_16x16x32_f16 a[118:121], v[42:45], v[150:153], a[118:121]
	; sched_group_barrier mask(0x00000008) size(1) SyncID(0)
	; sched_group_barrier mask(0x00000020) size(1) SyncID(0)
	v_mfma_f32_16x16x32_f16 a[106:109], v[42:45], v[90:93], a[106:109]
	v_mfma_f32_16x16x32_f16 a[102:105], v[42:45], v[194:197], a[102:105]
	; sched_group_barrier mask(0x00000008) size(2) SyncID(0)
	v_mfma_f32_16x16x32_f16 a[122:125], v[42:45], v[94:97], a[122:125]
	v_mfma_f32_16x16x32_f16 a[126:129], v[42:45], v[158:161], a[126:129]
	;; [unrolled: 1-line block ×4, first 2 shown]
	; sched_barrier mask(0x00000000)
	s_add_i32 s6, s6, 2
	s_cmp_lt_i32 s6, s30
	s_waitcnt lgkmcnt(14)
	v_mov_b32_e32 v106, v130
	v_mov_b32_e32 v107, v131
	;; [unrolled: 1-line block ×16, first 2 shown]
	s_waitcnt lgkmcnt(13)
	v_mov_b32_e32 v114, v138
	v_mov_b32_e32 v115, v139
	s_waitcnt lgkmcnt(11)
	v_mov_b32_e32 v116, v126
	v_mov_b32_e32 v117, v127
	;; [unrolled: 1-line block ×6, first 2 shown]
	s_waitcnt lgkmcnt(8)
	v_mov_b32_e32 v118, v142
	v_mov_b32_e32 v119, v143
	s_waitcnt lgkmcnt(6)
	v_mov_b32_e32 v120, v18
	v_mov_b32_e32 v121, v19
	;; [unrolled: 1-line block ×6, first 2 shown]
	s_cbranch_scc1 .LBB2_10
; %bb.11:
	s_waitcnt vmcnt(2)
	v_mov_b32_e32 v6, v130
	v_mov_b32_e32 v7, v131
	;; [unrolled: 1-line block ×4, first 2 shown]
	s_waitcnt lgkmcnt(0)
	s_barrier
	ds_read_b128 v[2:5], v73
	v_mfma_f32_16x16x32_f16 a[0:3], v[86:89], v[6:9], a[130:133]
	v_mov_b32_e32 v22, v132
	v_mov_b32_e32 v23, v133
	s_waitcnt vmcnt(1)
	v_mov_b32_e32 v10, v134
	v_mov_b32_e32 v11, v135
	v_mov_b32_e32 v12, v122
	v_mov_b32_e32 v13, v123
	v_mov_b32_e32 v122, v136
	v_mov_b32_e32 v123, v137
	v_accvgpr_read_b32 v157, a3
	v_accvgpr_read_b32 v156, a2
	;; [unrolled: 1-line block ×4, first 2 shown]
	v_mfma_f32_16x16x32_f16 a[0:3], v[86:89], v[22:25], a[134:137]
	v_add_u32_e32 v1, 0x4000, v74
	s_waitcnt vmcnt(0)
	v_mov_b32_e32 v14, v138
	v_mov_b32_e32 v15, v139
	;; [unrolled: 1-line block ×7, first 2 shown]
	v_accvgpr_read_b32 v133, a3
	v_accvgpr_read_b32 v132, a2
	;; [unrolled: 1-line block ×4, first 2 shown]
	v_mfma_f32_16x16x32_f16 a[0:3], v[86:89], v[10:13], a[140:143]
	v_mov_b32_e32 v27, v143
	v_mov_b32_e32 v28, v18
	;; [unrolled: 1-line block ×5, first 2 shown]
	v_add_u32_e32 v34, 0x4800, v74
	v_accvgpr_read_b32 v153, a117
	v_accvgpr_read_b32 v150, a114
	;; [unrolled: 1-line block ×6, first 2 shown]
	v_mfma_f32_16x16x32_f16 a[0:3], v[86:89], v[122:125], a[152:155]
	ds_read2_b64 v[66:69], v1 offset1:32
	v_accvgpr_read_b32 v152, a116
	v_accvgpr_read_b32 v151, a115
	;; [unrolled: 1-line block ×11, first 2 shown]
	v_mfma_f32_16x16x32_f16 a[0:3], v[86:89], v[14:17], a[144:147]
	v_accvgpr_read_b32 v106, a126
	v_accvgpr_read_b32 v148, a120
	;; [unrolled: 1-line block ×12, first 2 shown]
	v_mfma_f32_16x16x32_f16 a[0:3], v[86:89], v[126:129], a[148:151]
	v_accvgpr_read_b32 v114, a102
	v_accvgpr_read_b32 v111, a123
	;; [unrolled: 1-line block ×7, first 2 shown]
	s_mul_i32 s1, s3, s29
	v_accvgpr_read_b32 v141, a3
	v_accvgpr_read_b32 v140, a2
	;; [unrolled: 1-line block ×4, first 2 shown]
	v_mfma_f32_16x16x32_f16 a[0:3], v[86:89], v[26:29], a[156:159]
	s_mul_hi_u32 s3, 0, s29
	s_add_i32 s3, s3, s1
	; sched_group_barrier mask(0x00000100) size(1) SyncID(0)
	; sched_group_barrier mask(0x00000008) size(4) SyncID(0)
	;; [unrolled: 1-line block ×3, first 2 shown]
	s_nop 5
	v_accvgpr_read_b32 v177, a3
	v_accvgpr_read_b32 v176, a2
	;; [unrolled: 1-line block ×4, first 2 shown]
	v_mfma_f32_16x16x32_f16 a[0:3], v[86:89], v[18:21], a[160:163]
	ds_read2_b64 v[74:77], v34 offset1:32
	; sched_group_barrier mask(0x00000008) size(4) SyncID(0)
	; sched_group_barrier mask(0x00000100) size(1) SyncID(0)
	s_nop 6
	v_accvgpr_read_b32 v145, a3
	v_accvgpr_read_b32 v144, a2
	v_accvgpr_read_b32 v143, a1
	v_accvgpr_read_b32 v142, a0
	v_mfma_f32_16x16x32_f16 a[0:3], v[38:41], v[6:9], a[164:167]
	s_nop 7
	v_accvgpr_read_b32 v181, a3
	v_accvgpr_read_b32 v180, a2
	v_accvgpr_read_b32 v179, a1
	v_accvgpr_read_b32 v178, a0
	v_mfma_f32_16x16x32_f16 a[0:3], v[38:41], v[22:25], a[168:171]
	;; [unrolled: 6-line block ×4, first 2 shown]
	ds_read2_b64 v[78:81], v1 offset0:64 offset1:96
	; sched_group_barrier mask(0x00000008) size(4) SyncID(0)
	; sched_group_barrier mask(0x00000100) size(1) SyncID(0)
	s_nop 6
	v_accvgpr_read_b32 v193, a3
	v_accvgpr_read_b32 v192, a2
	v_accvgpr_read_b32 v191, a1
	v_accvgpr_read_b32 v190, a0
	v_mfma_f32_16x16x32_f16 a[0:3], v[38:41], v[14:17], a[180:183]
	s_nop 7
	v_accvgpr_read_b32 v197, a3
	v_accvgpr_read_b32 v196, a2
	v_accvgpr_read_b32 v195, a1
	v_accvgpr_read_b32 v194, a0
	v_mfma_f32_16x16x32_f16 a[0:3], v[38:41], v[126:129], a[184:187]
	;; [unrolled: 6-line block ×4, first 2 shown]
	ds_read2_b64 v[86:89], v34 offset0:64 offset1:96
	; sched_group_barrier mask(0x00000008) size(4) SyncID(0)
	; sched_group_barrier mask(0x00000100) size(1) SyncID(0)
	s_nop 6
	v_accvgpr_read_b32 v209, a3
	v_accvgpr_read_b32 v208, a2
	v_accvgpr_read_b32 v207, a1
	v_accvgpr_read_b32 v206, a0
	v_mfma_f32_16x16x32_f16 a[0:3], v[30:33], v[6:9], a[196:199]
	s_nop 7
	v_accvgpr_read_b32 v213, a3
	v_accvgpr_read_b32 v212, a2
	v_accvgpr_read_b32 v211, a1
	v_accvgpr_read_b32 v210, a0
	v_mfma_f32_16x16x32_f16 a[0:3], v[30:33], v[22:25], a[200:203]
	s_nop 7
	v_accvgpr_read_b32 v217, a3
	v_accvgpr_read_b32 v216, a2
	v_accvgpr_read_b32 v215, a1
	v_accvgpr_read_b32 v214, a0
	v_mfma_f32_16x16x32_f16 a[0:3], v[30:33], v[10:13], a[208:211]
	s_nop 7
	v_accvgpr_read_b32 v221, a3
	v_accvgpr_read_b32 v220, a2
	;; [unrolled: 1-line block ×4, first 2 shown]
	v_accvgpr_write_b32 a0, v166
	v_accvgpr_write_b32 a1, v167
	;; [unrolled: 1-line block ×4, first 2 shown]
	s_nop 1
	v_mfma_f32_16x16x32_f16 a[0:3], v[30:33], v[122:125], a[0:3]
	ds_read2_b64 v[90:93], v1 offset0:128 offset1:160
	; sched_group_barrier mask(0x00000008) size(4) SyncID(0)
	; sched_group_barrier mask(0x00000100) size(1) SyncID(0)
	v_mfma_f32_16x16x32_f16 a[186:189], v[30:33], v[126:129], a[220:223]
	v_mfma_f32_16x16x32_f16 a[190:193], v[30:33], v[26:29], a[224:227]
	s_nop 4
	v_accvgpr_read_b32 v169, a3
	v_accvgpr_read_b32 v168, a2
	;; [unrolled: 1-line block ×4, first 2 shown]
	v_accvgpr_write_b32 a0, v162
	v_accvgpr_write_b32 a1, v163
	;; [unrolled: 1-line block ×4, first 2 shown]
	v_mfma_f32_16x16x32_f16 a[224:227], v[30:33], v[18:21], a[216:219]
	s_nop 0
	v_mfma_f32_16x16x32_f16 a[182:185], v[30:33], v[14:17], a[0:3]
	ds_read2_b64 v[94:97], v34 offset0:128 offset1:160
	; sched_group_barrier mask(0x00000008) size(4) SyncID(0)
	; sched_group_barrier mask(0x00000100) size(1) SyncID(0)
	v_mfma_f32_16x16x32_f16 a[174:177], v[46:49], v[6:9], a[228:231]
	s_nop 0
	v_accvgpr_write_b32 a0, v150
	v_accvgpr_write_b32 a1, v151
	;; [unrolled: 1-line block ×4, first 2 shown]
	v_mfma_f32_16x16x32_f16 a[178:181], v[46:49], v[22:25], a[204:207]
	v_mfma_f32_16x16x32_f16 a[228:231], v[46:49], v[10:13], a[232:235]
	;; [unrolled: 1-line block ×3, first 2 shown]
	ds_read2_b64 v[98:101], v1 offset0:192 offset1:224
	; sched_group_barrier mask(0x00000008) size(4) SyncID(0)
	; sched_group_barrier mask(0x00000100) size(1) SyncID(0)
	v_mfma_f32_16x16x32_f16 a[236:239], v[46:49], v[14:17], a[236:239]
	v_mfma_f32_16x16x32_f16 a[170:173], v[46:49], v[126:129], a[240:243]
	;; [unrolled: 1-line block ×4, first 2 shown]
	ds_read2_b64 v[102:105], v34 offset0:192 offset1:224
	; sched_group_barrier mask(0x00000008) size(4) SyncID(0)
	; sched_group_barrier mask(0x00000100) size(1) SyncID(0)
	v_mfma_f32_16x16x32_f16 a[146:149], v[62:65], v[6:9], a[94:97]
	v_mfma_f32_16x16x32_f16 a[150:153], v[62:65], v[22:25], a[4:7]
	v_mfma_f32_16x16x32_f16 a[158:161], v[62:65], v[10:13], a[90:93]
	v_mfma_f32_16x16x32_f16 a[154:157], v[62:65], v[122:125], a[8:11]
	ds_read_b128 v[30:33], v73 offset:512
	; sched_group_barrier mask(0x00000008) size(4) SyncID(0)
	; sched_group_barrier mask(0x00000100) size(1) SyncID(0)
	v_mfma_f32_16x16x32_f16 a[142:145], v[62:65], v[14:17], a[12:15]
	v_mfma_f32_16x16x32_f16 a[130:133], v[62:65], v[126:129], a[16:19]
	v_mfma_f32_16x16x32_f16 a[134:137], v[62:65], v[26:29], a[20:23]
	v_mfma_f32_16x16x32_f16 a[138:141], v[62:65], v[18:21], a[86:89]
	ds_read_b128 v[34:37], v73 offset:1024
	;; [unrolled: 7-line block ×6, first 2 shown]
	; sched_group_barrier mask(0x00000008) size(4) SyncID(0)
	; sched_group_barrier mask(0x00000100) size(1) SyncID(0)
	v_mfma_f32_16x16x32_f16 a[48:51], v[82:85], v[6:9], a[0:3]
	s_nop 2
	v_accvgpr_write_b32 a0, v146
	v_accvgpr_write_b32 a1, v147
	v_accvgpr_write_b32 a2, v148
	v_accvgpr_write_b32 a3, v149
	s_nop 1
	v_mfma_f32_16x16x32_f16 a[52:55], v[82:85], v[22:25], a[0:3]
	s_nop 2
	v_accvgpr_write_b32 a0, v118
	v_accvgpr_write_b32 a1, v119
	v_accvgpr_write_b32 a2, v120
	v_accvgpr_write_b32 a3, v121
	s_nop 1
	v_mfma_f32_16x16x32_f16 a[56:59], v[82:85], v[10:13], a[0:3]
	s_nop 2
	v_accvgpr_write_b32 a0, v114
	v_accvgpr_write_b32 a1, v115
	v_accvgpr_write_b32 a2, v116
	v_accvgpr_write_b32 a3, v117
	s_nop 1
	v_mfma_f32_16x16x32_f16 a[60:63], v[82:85], v[122:125], a[0:3]
	ds_read_b128 v[6:9], v73 offset:3584
	; sched_group_barrier mask(0x00000008) size(4) SyncID(0)
	; sched_group_barrier mask(0x00000100) size(1) SyncID(0)
	v_mfma_f32_16x16x32_f16 a[44:47], v[82:85], v[26:29], a[248:251]
	s_nop 0
	v_accvgpr_write_b32 a0, v110
	v_accvgpr_write_b32 a1, v111
	;; [unrolled: 1-line block ×4, first 2 shown]
	v_mfma_f32_16x16x32_f16 a[32:35], v[82:85], v[18:21], a[252:255]
	s_nop 0
	v_mfma_f32_16x16x32_f16 a[36:39], v[82:85], v[14:17], a[0:3]
	s_nop 2
	v_accvgpr_write_b32 a0, v106
	v_accvgpr_write_b32 a1, v107
	;; [unrolled: 1-line block ×4, first 2 shown]
	s_nop 1
	v_mfma_f32_16x16x32_f16 a[40:43], v[82:85], v[126:129], a[0:3]
	; sched_group_barrier mask(0x00000008) size(4) SyncID(0)
	; sched_barrier mask(0x00000000)
	v_accvgpr_write_b32 a243, v213
	s_waitcnt lgkmcnt(14)
	v_mov_b32_e32 v10, v66
	v_mov_b32_e32 v11, v67
	s_waitcnt lgkmcnt(13)
	v_mov_b32_e32 v12, v74
	v_mov_b32_e32 v13, v75
	v_accvgpr_write_b32 a242, v212
	v_accvgpr_write_b32 a241, v211
	;; [unrolled: 1-line block ×3, first 2 shown]
	v_mov_b32_e32 v74, v68
	v_mov_b32_e32 v75, v69
	s_waitcnt lgkmcnt(5)
	v_mfma_f32_16x16x32_f16 a[248:251], v[34:37], v[10:13], a[240:243]
	v_mov_b32_e32 v14, v78
	v_mov_b32_e32 v15, v79
	;; [unrolled: 1-line block ×3, first 2 shown]
	v_accvgpr_write_b32 a243, v217
	v_accvgpr_write_b32 a242, v216
	;; [unrolled: 1-line block ×4, first 2 shown]
	v_mov_b32_e32 v17, v87
	s_waitcnt lgkmcnt(4)
	v_mfma_f32_16x16x32_f16 a[174:177], v[38:41], v[10:13], a[174:177]
	v_mov_b32_e32 v86, v80
	v_mov_b32_e32 v87, v81
	;; [unrolled: 1-line block ×3, first 2 shown]
	v_mfma_f32_16x16x32_f16 a[244:247], v[34:37], v[74:77], a[240:243]
	v_mov_b32_e32 v19, v91
	v_mov_b32_e32 v20, v94
	;; [unrolled: 1-line block ×3, first 2 shown]
	v_accvgpr_write_b32 a243, v221
	v_accvgpr_write_b32 a242, v220
	;; [unrolled: 1-line block ×4, first 2 shown]
	v_mov_b32_e32 v94, v92
	v_mov_b32_e32 v95, v93
	v_mfma_f32_16x16x32_f16 a[240:243], v[34:37], v[14:17], a[240:243]
	v_mov_b32_e32 v22, v98
	v_mov_b32_e32 v23, v99
	;; [unrolled: 1-line block ×6, first 2 shown]
	v_mfma_f32_16x16x32_f16 a[182:185], v[34:37], v[18:21], a[182:185]
	v_accvgpr_write_b32 a197, v181
	v_accvgpr_read_b32 v66, a240
	v_accvgpr_read_b32 v67, a241
	;; [unrolled: 1-line block ×4, first 2 shown]
	v_accvgpr_write_b32 a243, v169
	v_accvgpr_write_b32 a242, v168
	;; [unrolled: 1-line block ×4, first 2 shown]
	v_mfma_f32_16x16x32_f16 a[186:189], v[34:37], v[94:97], a[186:189]
	v_accvgpr_write_b32 a196, v180
	v_accvgpr_write_b32 a195, v179
	v_accvgpr_write_b32 a194, v178
	v_mfma_f32_16x16x32_f16 a[240:243], v[34:37], v[86:89], a[240:243]
	v_accvgpr_write_b32 a203, v189
	v_accvgpr_write_b32 a207, v193
	v_accvgpr_write_b32 a211, v197
	;; [unrolled: 4-line block ×3, first 2 shown]
	v_mfma_f32_16x16x32_f16 a[224:227], v[34:37], v[102:105], a[224:227]
	v_accvgpr_read_b32 v34, a174
	v_accvgpr_read_b32 v35, a175
	v_accvgpr_read_b32 v36, a176
	v_accvgpr_read_b32 v37, a177
	v_mfma_f32_16x16x32_f16 a[174:177], v[38:41], v[74:77], a[178:181]
	v_accvgpr_write_b32 a0, v154
	v_accvgpr_write_b32 a4, v130
	;; [unrolled: 1-line block ×3, first 2 shown]
	s_waitcnt lgkmcnt(3)
	v_mfma_f32_16x16x32_f16 a[150:153], v[42:45], v[74:77], a[150:153]
	v_accvgpr_write_b32 a12, v134
	v_accvgpr_write_b32 a16, v170
	;; [unrolled: 1-line block ×3, first 2 shown]
	v_mfma_f32_16x16x32_f16 a[154:157], v[42:45], v[86:89], a[154:157]
	v_accvgpr_read_b32 v54, a174
	v_accvgpr_read_b32 v55, a175
	;; [unrolled: 1-line block ×4, first 2 shown]
	v_mfma_f32_16x16x32_f16 a[174:177], v[38:41], v[14:17], a[228:231]
	v_accvgpr_write_b32 a24, v174
	v_accvgpr_write_b32 a28, v142
	;; [unrolled: 1-line block ×3, first 2 shown]
	v_mfma_f32_16x16x32_f16 a[252:255], v[30:33], v[10:13], a[194:197]
	v_accvgpr_write_b32 a201, v187
	v_accvgpr_write_b32 a200, v186
	;; [unrolled: 1-line block ×45, first 2 shown]
	v_mfma_f32_16x16x32_f16 a[196:199], v[30:33], v[74:77], a[194:197]
	v_accvgpr_read_b32 v58, a174
	v_accvgpr_read_b32 v26, a154
	;; [unrolled: 1-line block ×3, first 2 shown]
	v_mfma_f32_16x16x32_f16 a[200:203], v[30:33], v[14:17], a[200:203]
	v_accvgpr_read_b32 v60, a176
	v_accvgpr_read_b32 v61, a177
	;; [unrolled: 1-line block ×3, first 2 shown]
	v_mfma_f32_16x16x32_f16 a[204:207], v[30:33], v[86:89], a[204:207]
	v_accvgpr_read_b32 v28, a156
	v_accvgpr_read_b32 v29, a157
	v_mfma_f32_16x16x32_f16 a[208:211], v[30:33], v[18:21], a[208:211]
	v_mfma_f32_16x16x32_f16 a[212:215], v[30:33], v[94:97], a[212:215]
	;; [unrolled: 1-line block ×4, first 2 shown]
	v_accvgpr_read_b32 v30, a150
	v_accvgpr_read_b32 v31, a151
	;; [unrolled: 1-line block ×3, first 2 shown]
	v_mfma_f32_16x16x32_f16 a[0:3], v[2:5], v[10:13], a[0:3]
	v_accvgpr_read_b32 v33, a153
	v_mfma_f32_16x16x32_f16 a[4:7], v[2:5], v[74:77], a[4:7]
	v_mfma_f32_16x16x32_f16 a[8:11], v[2:5], v[14:17], a[8:11]
	;; [unrolled: 1-line block ×18, first 2 shown]
	s_waitcnt lgkmcnt(2)
	v_mfma_f32_16x16x32_f16 a[142:145], v[46:49], v[10:13], a[118:121]
	v_mfma_f32_16x16x32_f16 a[158:161], v[46:49], v[74:77], a[114:117]
	v_mfma_f32_16x16x32_f16 a[126:129], v[46:49], v[14:17], a[126:129]
	v_mfma_f32_16x16x32_f16 a[122:125], v[46:49], v[86:89], a[122:125]
	v_mfma_f32_16x16x32_f16 a[118:121], v[46:49], v[18:21], a[98:101]
	v_mfma_f32_16x16x32_f16 a[114:117], v[46:49], v[94:97], a[94:97]
	v_mfma_f32_16x16x32_f16 a[106:109], v[46:49], v[22:25], a[106:109]
	v_mfma_f32_16x16x32_f16 a[94:97], v[46:49], v[102:105], a[102:105]
	s_waitcnt lgkmcnt(1)
	v_mfma_f32_16x16x32_f16 a[82:85], v[50:53], v[10:13], a[82:85]
	v_mfma_f32_16x16x32_f16 a[138:141], v[50:53], v[74:77], a[78:81]
	v_mfma_f32_16x16x32_f16 a[174:177], v[50:53], v[14:17], a[90:93]
	v_mfma_f32_16x16x32_f16 a[88:91], v[50:53], v[86:89], a[86:89]
	v_mfma_f32_16x16x32_f16 a[70:73], v[50:53], v[18:21], a[70:73]
	v_mfma_f32_16x16x32_f16 a[78:81], v[50:53], v[94:97], a[66:69]
	v_mfma_f32_16x16x32_f16 a[64:67], v[50:53], v[22:25], a[74:77]
	v_mfma_f32_16x16x32_f16 a[110:113], v[50:53], v[102:105], a[110:113]
	;; [unrolled: 9-line block ×3, first 2 shown]
	; sched_group_barrier mask(0x00000008) size(64) SyncID(0)
	; sched_barrier mask(0x00000000)
	v_lshrrev_b32_e32 v1, 2, v0
	v_lshrrev_b32_e32 v4, 3, v0
	v_and_b32_e32 v1, 12, v1
	v_and_or_b32 v1, v4, 16, v1
	v_lshlrev_b32_e32 v2, 2, v0
	v_lshrrev_b32_e32 v0, 1, v0
	v_and_b32_e32 v5, 28, v2
	v_and_b32_e32 v0, 32, v0
	v_lshlrev_b32_e32 v1, 6, v1
	v_lshlrev_b32_e32 v6, 1, v70
	v_lshl_or_b32 v2, s2, 8, v5
	v_lshl_or_b32 v3, s0, 8, v4
	v_or3_b32 v0, v0, v1, v6
	v_accvgpr_read_b32 v1, a1
	v_mad_u64_u32 v[2:3], s[0:1], v3, s29, v[2:3]
	v_cvt_f16_f32_e32 v1, v1
	v_accvgpr_read_b32 v3, a0
	v_accvgpr_read_b32 v6, a2
	;; [unrolled: 1-line block ×3, first 2 shown]
	v_cvt_f16_f32_e32 v3, v3
	v_cvt_f16_f32_e32 v6, v6
	;; [unrolled: 1-line block ×3, first 2 shown]
	s_waitcnt lgkmcnt(0)
	s_barrier
	ds_write_b16 v0, v1 offset:64
	v_lshlrev_b32_e32 v1, 1, v5
	v_lshl_or_b32 v1, v4, 6, v1
	ds_write_b16 v0, v3
	ds_write_b16 v0, v6 offset:128
	ds_write_b16 v0, v7 offset:192
	s_waitcnt lgkmcnt(0)
	s_barrier
	ds_read_b64 v[4:5], v1
	s_add_i32 s0, s9, s3
	s_lshl_b32 s6, s0, 1
	s_and_b32 s5, s5, 0xffff
	s_mov_b32 s7, 0x20000
	v_lshlrev_b32_e32 v3, 1, v2
	s_waitcnt lgkmcnt(0)
	buffer_store_dwordx2 v[4:5], v3, s[4:7], 0 offen
	v_accvgpr_read_b32 v4, a4
	v_accvgpr_read_b32 v5, a5
	v_accvgpr_read_b32 v6, a6
	v_accvgpr_read_b32 v7, a7
	v_cvt_f16_f32_e32 v4, v4
	v_cvt_f16_f32_e32 v5, v5
	;; [unrolled: 1-line block ×4, first 2 shown]
	s_waitcnt lgkmcnt(0)
	s_barrier
	ds_write_b16 v0, v4
	ds_write_b16 v0, v5 offset:64
	ds_write_b16 v0, v6 offset:128
	ds_write_b16 v0, v7 offset:192
	s_waitcnt lgkmcnt(0)
	s_barrier
	ds_read_b64 v[4:5], v1
	v_accvgpr_read_b32 v6, a10
	v_accvgpr_read_b32 v7, a11
	v_cvt_f16_f32_e32 v6, v6
	v_cvt_f16_f32_e32 v7, v7
	s_waitcnt lgkmcnt(0)
	buffer_store_dwordx2 v[4:5], v3, s[4:7], 0 offen offset:64
	v_accvgpr_read_b32 v4, a8
	v_accvgpr_read_b32 v5, a9
	v_cvt_f16_f32_e32 v4, v4
	v_cvt_f16_f32_e32 v5, v5
	s_waitcnt lgkmcnt(0)
	s_barrier
	ds_write_b16 v0, v4
	ds_write_b16 v0, v5 offset:64
	ds_write_b16 v0, v6 offset:128
	ds_write_b16 v0, v7 offset:192
	s_waitcnt lgkmcnt(0)
	s_barrier
	ds_read_b64 v[4:5], v1
	v_accvgpr_read_b32 v6, a14
	v_accvgpr_read_b32 v7, a15
	v_cvt_f16_f32_e32 v6, v6
	v_cvt_f16_f32_e32 v7, v7
	s_waitcnt lgkmcnt(0)
	buffer_store_dwordx2 v[4:5], v3, s[4:7], 0 offen offset:128
	v_accvgpr_read_b32 v4, a12
	v_accvgpr_read_b32 v5, a13
	v_cvt_f16_f32_e32 v4, v4
	v_cvt_f16_f32_e32 v5, v5
	;; [unrolled: 19-line block ×5, first 2 shown]
	s_waitcnt lgkmcnt(0)
	s_barrier
	ds_write_b16 v0, v4
	ds_write_b16 v0, v5 offset:64
	ds_write_b16 v0, v6 offset:128
	;; [unrolled: 1-line block ×3, first 2 shown]
	s_waitcnt lgkmcnt(0)
	s_barrier
	ds_read_b64 v[4:5], v1
	v_accvgpr_read_b32 v6, a31
	v_cvt_f16_f32_e32 v6, v6
	v_accvgpr_read_b32 v7, a223
	v_cvt_f16_f32_e32 v7, v7
	s_waitcnt lgkmcnt(0)
	buffer_store_dwordx2 v[4:5], v3, s[4:7], 0 offen offset:384
	v_accvgpr_read_b32 v3, a28
	v_accvgpr_read_b32 v4, a29
	;; [unrolled: 1-line block ×3, first 2 shown]
	v_cvt_f16_f32_e32 v3, v3
	v_cvt_f16_f32_e32 v4, v4
	;; [unrolled: 1-line block ×3, first 2 shown]
	s_waitcnt lgkmcnt(0)
	s_barrier
	ds_write_b16 v0, v3
	ds_write_b16 v0, v4 offset:64
	ds_write_b16 v0, v5 offset:128
	;; [unrolled: 1-line block ×3, first 2 shown]
	s_waitcnt lgkmcnt(0)
	s_barrier
	ds_read_b64 v[4:5], v1
	v_add_u32_e32 v3, 0xe0, v2
	v_lshlrev_b32_e32 v6, 1, v3
	s_lshl_b32 s0, s29, 5
	v_add_lshl_u32 v3, v3, s0, 1
	s_waitcnt lgkmcnt(0)
	buffer_store_dwordx2 v[4:5], v6, s[4:7], 0 offen
	v_accvgpr_read_b32 v4, a220
	v_accvgpr_read_b32 v5, a221
	;; [unrolled: 1-line block ×3, first 2 shown]
	v_cvt_f16_f32_e32 v4, v4
	v_cvt_f16_f32_e32 v5, v5
	;; [unrolled: 1-line block ×3, first 2 shown]
	s_waitcnt lgkmcnt(0)
	s_barrier
	ds_write_b16 v0, v4
	ds_write_b16 v0, v5 offset:64
	ds_write_b16 v0, v6 offset:128
	;; [unrolled: 1-line block ×3, first 2 shown]
	s_waitcnt lgkmcnt(0)
	s_barrier
	ds_read_b64 v[4:5], v1
	v_accvgpr_read_b32 v6, a218
	v_accvgpr_read_b32 v7, a219
	v_cvt_f16_f32_e32 v6, v6
	v_cvt_f16_f32_e32 v7, v7
	s_waitcnt lgkmcnt(0)
	buffer_store_dwordx2 v[4:5], v3, s[4:7], 0 offen
	v_accvgpr_read_b32 v4, a216
	v_accvgpr_read_b32 v5, a217
	v_cvt_f16_f32_e32 v4, v4
	v_cvt_f16_f32_e32 v5, v5
	s_waitcnt lgkmcnt(0)
	s_barrier
	ds_write_b16 v0, v4
	ds_write_b16 v0, v5 offset:64
	ds_write_b16 v0, v6 offset:128
	;; [unrolled: 1-line block ×3, first 2 shown]
	s_waitcnt lgkmcnt(0)
	s_barrier
	ds_read_b64 v[4:5], v1
	v_subrev_u32_e32 v6, 64, v3
	v_accvgpr_read_b32 v7, a215
	v_cvt_f16_f32_e32 v7, v7
	s_waitcnt lgkmcnt(0)
	buffer_store_dwordx2 v[4:5], v6, s[4:7], 0 offen
	v_accvgpr_read_b32 v4, a212
	v_accvgpr_read_b32 v5, a213
	v_accvgpr_read_b32 v6, a214
	v_cvt_f16_f32_e32 v4, v4
	v_cvt_f16_f32_e32 v5, v5
	v_cvt_f16_f32_e32 v6, v6
	s_waitcnt lgkmcnt(0)
	s_barrier
	ds_write_b16 v0, v4
	ds_write_b16 v0, v5 offset:64
	ds_write_b16 v0, v6 offset:128
	ds_write_b16 v0, v7 offset:192
	s_waitcnt lgkmcnt(0)
	s_barrier
	ds_read_b64 v[4:5], v1
	v_add_u32_e32 v6, 0xffffff80, v3
	v_accvgpr_read_b32 v7, a211
	v_cvt_f16_f32_e32 v7, v7
	s_waitcnt lgkmcnt(0)
	buffer_store_dwordx2 v[4:5], v6, s[4:7], 0 offen
	v_accvgpr_read_b32 v4, a208
	v_accvgpr_read_b32 v5, a209
	v_accvgpr_read_b32 v6, a210
	v_cvt_f16_f32_e32 v4, v4
	v_cvt_f16_f32_e32 v5, v5
	v_cvt_f16_f32_e32 v6, v6
	s_waitcnt lgkmcnt(0)
	s_barrier
	ds_write_b16 v0, v4
	ds_write_b16 v0, v5 offset:64
	ds_write_b16 v0, v6 offset:128
	ds_write_b16 v0, v7 offset:192
	s_waitcnt lgkmcnt(0)
	s_barrier
	ds_read_b64 v[4:5], v1
	v_add_u32_e32 v6, 0xffffff40, v3
	;; [unrolled: 20-line block ×4, first 2 shown]
	v_accvgpr_read_b32 v7, a199
	v_cvt_f16_f32_e32 v7, v7
	v_add_u32_e32 v3, 0xfffffe80, v3
	s_waitcnt lgkmcnt(0)
	buffer_store_dwordx2 v[4:5], v6, s[4:7], 0 offen
	v_accvgpr_read_b32 v4, a196
	v_accvgpr_read_b32 v5, a197
	;; [unrolled: 1-line block ×3, first 2 shown]
	v_cvt_f16_f32_e32 v4, v4
	v_cvt_f16_f32_e32 v5, v5
	;; [unrolled: 1-line block ×3, first 2 shown]
	s_waitcnt lgkmcnt(0)
	s_barrier
	ds_write_b16 v0, v4
	ds_write_b16 v0, v5 offset:64
	ds_write_b16 v0, v6 offset:128
	;; [unrolled: 1-line block ×3, first 2 shown]
	s_waitcnt lgkmcnt(0)
	s_barrier
	ds_read_b64 v[4:5], v1
	v_accvgpr_read_b32 v6, a255
	v_cvt_f16_f32_e32 v6, v6
	v_accvgpr_read_b32 v7, a247
	v_cvt_f16_f32_e32 v7, v7
	s_waitcnt lgkmcnt(0)
	buffer_store_dwordx2 v[4:5], v3, s[4:7], 0 offen
	v_accvgpr_read_b32 v3, a252
	v_accvgpr_read_b32 v4, a253
	;; [unrolled: 1-line block ×3, first 2 shown]
	v_cvt_f16_f32_e32 v3, v3
	v_cvt_f16_f32_e32 v4, v4
	;; [unrolled: 1-line block ×3, first 2 shown]
	s_waitcnt lgkmcnt(0)
	s_barrier
	ds_write_b16 v0, v3
	ds_write_b16 v0, v4 offset:64
	ds_write_b16 v0, v5 offset:128
	;; [unrolled: 1-line block ×3, first 2 shown]
	s_waitcnt lgkmcnt(0)
	s_barrier
	ds_read_b64 v[4:5], v1
	v_add_u32_e32 v6, s0, v2
	v_lshlrev_b32_e32 v2, 1, v6
	v_accvgpr_read_b32 v3, a249
	v_cvt_f16_f32_e32 v3, v3
	s_waitcnt lgkmcnt(0)
	buffer_store_dwordx2 v[4:5], v2, s[4:7], 0 offen
	v_accvgpr_read_b32 v2, a248
	v_accvgpr_read_b32 v4, a250
	;; [unrolled: 1-line block ×3, first 2 shown]
	v_cvt_f16_f32_e32 v2, v2
	v_cvt_f16_f32_e32 v4, v4
	;; [unrolled: 1-line block ×3, first 2 shown]
	s_waitcnt lgkmcnt(0)
	s_barrier
	ds_write_b16 v0, v2
	ds_write_b16 v0, v3 offset:64
	ds_write_b16 v0, v4 offset:128
	;; [unrolled: 1-line block ×3, first 2 shown]
	s_waitcnt lgkmcnt(0)
	s_barrier
	ds_read_b64 v[2:3], v1
	v_add_u32_e32 v4, s0, v6
	v_lshlrev_b32_e32 v5, 1, v4
	v_accvgpr_read_b32 v6, a246
	v_cvt_f16_f32_e32 v6, v6
	s_waitcnt lgkmcnt(0)
	buffer_store_dwordx2 v[2:3], v5, s[4:7], 0 offen
	v_accvgpr_read_b32 v2, a244
	v_accvgpr_read_b32 v3, a245
	v_cvt_f16_f32_e32 v2, v2
	v_cvt_f16_f32_e32 v3, v3
	s_waitcnt lgkmcnt(0)
	s_barrier
	ds_write_b16 v0, v2
	ds_write_b16 v0, v3 offset:64
	ds_write_b16 v0, v6 offset:128
	;; [unrolled: 1-line block ×3, first 2 shown]
	s_waitcnt lgkmcnt(0)
	s_barrier
	ds_read_b64 v[2:3], v1
	v_mov_b64_e32 v[6:7], v[66:67]
	v_mov_b64_e32 v[8:9], v[68:69]
	s_waitcnt lgkmcnt(0)
	buffer_store_dwordx2 v[2:3], v5, s[4:7], 0 offen offset:64
	v_mov_b32_e32 v2, v6
	v_mov_b32_e32 v3, v7
	;; [unrolled: 1-line block ×4, first 2 shown]
	v_cvt_f16_f32_e32 v2, v2
	v_cvt_f16_f32_e32 v3, v3
	;; [unrolled: 1-line block ×4, first 2 shown]
	s_waitcnt lgkmcnt(0)
	s_barrier
	ds_write_b16 v0, v2
	ds_write_b16 v0, v3 offset:64
	ds_write_b16 v0, v6 offset:128
	ds_write_b16 v0, v7 offset:192
	s_waitcnt lgkmcnt(0)
	s_barrier
	ds_read_b64 v[2:3], v1
	v_accvgpr_read_b32 v6, a242
	v_accvgpr_read_b32 v7, a243
	v_cvt_f16_f32_e32 v6, v6
	v_cvt_f16_f32_e32 v7, v7
	s_waitcnt lgkmcnt(0)
	buffer_store_dwordx2 v[2:3], v5, s[4:7], 0 offen offset:128
	v_accvgpr_read_b32 v2, a240
	v_accvgpr_read_b32 v3, a241
	v_cvt_f16_f32_e32 v2, v2
	v_cvt_f16_f32_e32 v3, v3
	s_waitcnt lgkmcnt(0)
	s_barrier
	ds_write_b16 v0, v2
	ds_write_b16 v0, v3 offset:64
	ds_write_b16 v0, v6 offset:128
	ds_write_b16 v0, v7 offset:192
	s_waitcnt lgkmcnt(0)
	s_barrier
	ds_read_b64 v[2:3], v1
	v_accvgpr_read_b32 v6, a184
	v_accvgpr_read_b32 v7, a185
	v_cvt_f16_f32_e32 v6, v6
	v_cvt_f16_f32_e32 v7, v7
	s_waitcnt lgkmcnt(0)
	buffer_store_dwordx2 v[2:3], v5, s[4:7], 0 offen offset:192
	v_accvgpr_read_b32 v2, a182
	v_accvgpr_read_b32 v3, a183
	v_cvt_f16_f32_e32 v2, v2
	v_cvt_f16_f32_e32 v3, v3
	;; [unrolled: 19-line block ×4, first 2 shown]
	s_waitcnt lgkmcnt(0)
	s_barrier
	ds_write_b16 v0, v2
	ds_write_b16 v0, v3 offset:64
	ds_write_b16 v0, v6 offset:128
	;; [unrolled: 1-line block ×3, first 2 shown]
	s_waitcnt lgkmcnt(0)
	s_barrier
	ds_read_b64 v[2:3], v1
	v_accvgpr_read_b32 v6, a227
	v_cvt_f16_f32_e32 v6, v6
	v_accvgpr_read_b32 v7, a165
	v_cvt_f16_f32_e32 v7, v7
	s_waitcnt lgkmcnt(0)
	buffer_store_dwordx2 v[2:3], v5, s[4:7], 0 offen offset:384
	v_accvgpr_read_b32 v2, a224
	v_accvgpr_read_b32 v3, a225
	;; [unrolled: 1-line block ×3, first 2 shown]
	v_cvt_f16_f32_e32 v2, v2
	v_cvt_f16_f32_e32 v3, v3
	;; [unrolled: 1-line block ×3, first 2 shown]
	s_waitcnt lgkmcnt(0)
	s_barrier
	ds_write_b16 v0, v2
	ds_write_b16 v0, v3 offset:64
	ds_write_b16 v0, v5 offset:128
	ds_write_b16 v0, v6 offset:192
	s_waitcnt lgkmcnt(0)
	s_barrier
	ds_read_b64 v[2:3], v1
	v_add_u32_e32 v5, 0xe0, v4
	v_lshlrev_b32_e32 v6, 1, v5
	v_add_lshl_u32 v5, v5, s0, 1
	v_add_u32_e32 v4, s0, v4
	s_waitcnt lgkmcnt(0)
	buffer_store_dwordx2 v[2:3], v6, s[4:7], 0 offen
	v_accvgpr_read_b32 v2, a162
	v_accvgpr_read_b32 v3, a163
	;; [unrolled: 1-line block ×3, first 2 shown]
	v_cvt_f16_f32_e32 v2, v2
	v_cvt_f16_f32_e32 v3, v3
	;; [unrolled: 1-line block ×3, first 2 shown]
	s_waitcnt lgkmcnt(0)
	s_barrier
	ds_write_b16 v0, v2
	ds_write_b16 v0, v3 offset:64
	ds_write_b16 v0, v6 offset:128
	ds_write_b16 v0, v7 offset:192
	s_waitcnt lgkmcnt(0)
	s_barrier
	ds_read_b64 v[2:3], v1
	v_accvgpr_read_b32 v6, a168
	v_accvgpr_read_b32 v7, a169
	v_cvt_f16_f32_e32 v6, v6
	v_cvt_f16_f32_e32 v7, v7
	s_waitcnt lgkmcnt(0)
	buffer_store_dwordx2 v[2:3], v5, s[4:7], 0 offen
	v_accvgpr_read_b32 v2, a166
	v_accvgpr_read_b32 v3, a167
	v_cvt_f16_f32_e32 v2, v2
	v_cvt_f16_f32_e32 v3, v3
	s_waitcnt lgkmcnt(0)
	s_barrier
	ds_write_b16 v0, v2
	ds_write_b16 v0, v3 offset:64
	ds_write_b16 v0, v6 offset:128
	;; [unrolled: 1-line block ×3, first 2 shown]
	s_waitcnt lgkmcnt(0)
	s_barrier
	ds_read_b64 v[2:3], v1
	v_subrev_u32_e32 v6, 64, v5
	v_accvgpr_read_b32 v7, a239
	v_cvt_f16_f32_e32 v7, v7
	s_waitcnt lgkmcnt(0)
	buffer_store_dwordx2 v[2:3], v6, s[4:7], 0 offen
	v_accvgpr_read_b32 v2, a236
	v_accvgpr_read_b32 v3, a237
	v_accvgpr_read_b32 v6, a238
	v_cvt_f16_f32_e32 v2, v2
	v_cvt_f16_f32_e32 v3, v3
	v_cvt_f16_f32_e32 v6, v6
	s_waitcnt lgkmcnt(0)
	s_barrier
	ds_write_b16 v0, v2
	ds_write_b16 v0, v3 offset:64
	ds_write_b16 v0, v6 offset:128
	ds_write_b16 v0, v7 offset:192
	s_waitcnt lgkmcnt(0)
	s_barrier
	ds_read_b64 v[2:3], v1
	v_add_u32_e32 v6, 0xffffff80, v5
	v_accvgpr_read_b32 v7, a231
	v_cvt_f16_f32_e32 v7, v7
	s_waitcnt lgkmcnt(0)
	buffer_store_dwordx2 v[2:3], v6, s[4:7], 0 offen
	v_accvgpr_read_b32 v2, a228
	v_accvgpr_read_b32 v3, a229
	v_accvgpr_read_b32 v6, a230
	v_cvt_f16_f32_e32 v2, v2
	v_cvt_f16_f32_e32 v3, v3
	v_cvt_f16_f32_e32 v6, v6
	s_waitcnt lgkmcnt(0)
	s_barrier
	ds_write_b16 v0, v2
	ds_write_b16 v0, v3 offset:64
	ds_write_b16 v0, v6 offset:128
	ds_write_b16 v0, v7 offset:192
	s_waitcnt lgkmcnt(0)
	s_barrier
	ds_read_b64 v[2:3], v1
	v_add_u32_e32 v6, 0xffffff40, v5
	;; [unrolled: 20-line block ×3, first 2 shown]
	s_waitcnt lgkmcnt(0)
	buffer_store_dwordx2 v[2:3], v6, s[4:7], 0 offen
	v_mov_b64_e32 v[6:7], v[58:59]
	v_mov_b64_e32 v[8:9], v[60:61]
	v_mov_b32_e32 v2, v6
	v_mov_b32_e32 v3, v7
	;; [unrolled: 1-line block ×4, first 2 shown]
	v_cvt_f16_f32_e32 v2, v2
	v_cvt_f16_f32_e32 v3, v3
	;; [unrolled: 1-line block ×4, first 2 shown]
	s_waitcnt lgkmcnt(0)
	s_barrier
	ds_write_b16 v0, v2
	ds_write_b16 v0, v3 offset:64
	ds_write_b16 v0, v6 offset:128
	;; [unrolled: 1-line block ×3, first 2 shown]
	s_waitcnt lgkmcnt(0)
	s_barrier
	ds_read_b64 v[2:3], v1
	v_add_u32_e32 v6, 0xfffffec0, v5
	v_add_u32_e32 v5, 0xfffffe80, v5
	s_waitcnt lgkmcnt(0)
	buffer_store_dwordx2 v[2:3], v6, s[4:7], 0 offen
	v_mov_b64_e32 v[6:7], v[54:55]
	v_mov_b64_e32 v[8:9], v[56:57]
	v_mov_b32_e32 v2, v6
	v_mov_b32_e32 v3, v7
	v_mov_b32_e32 v6, v8
	v_mov_b32_e32 v7, v9
	v_cvt_f16_f32_e32 v2, v2
	v_cvt_f16_f32_e32 v3, v3
	;; [unrolled: 1-line block ×4, first 2 shown]
	s_waitcnt lgkmcnt(0)
	s_barrier
	ds_write_b16 v0, v2
	ds_write_b16 v0, v3 offset:64
	ds_write_b16 v0, v6 offset:128
	ds_write_b16 v0, v7 offset:192
	s_waitcnt lgkmcnt(0)
	s_barrier
	ds_read_b64 v[2:3], v1
	v_mov_b64_e32 v[6:7], v[34:35]
	v_mov_b64_e32 v[8:9], v[36:37]
	s_waitcnt lgkmcnt(0)
	buffer_store_dwordx2 v[2:3], v5, s[4:7], 0 offen
	v_mov_b32_e32 v2, v6
	v_mov_b32_e32 v3, v7
	;; [unrolled: 1-line block ×4, first 2 shown]
	v_cvt_f16_f32_e32 v2, v2
	v_cvt_f16_f32_e32 v3, v3
	;; [unrolled: 1-line block ×4, first 2 shown]
	s_waitcnt lgkmcnt(0)
	s_barrier
	ds_write_b16 v0, v2
	ds_write_b16 v0, v3 offset:64
	ds_write_b16 v0, v5 offset:128
	;; [unrolled: 1-line block ×3, first 2 shown]
	s_waitcnt lgkmcnt(0)
	s_barrier
	ds_read_b64 v[2:3], v1
	v_lshlrev_b32_e32 v5, 1, v4
	v_accvgpr_read_b32 v6, a149
	v_cvt_f16_f32_e32 v6, v6
	v_add_u32_e32 v4, s0, v4
	s_waitcnt lgkmcnt(0)
	buffer_store_dwordx2 v[2:3], v5, s[4:7], 0 offen
	v_accvgpr_read_b32 v2, a146
	v_accvgpr_read_b32 v3, a147
	;; [unrolled: 1-line block ×3, first 2 shown]
	v_cvt_f16_f32_e32 v2, v2
	v_cvt_f16_f32_e32 v3, v3
	;; [unrolled: 1-line block ×3, first 2 shown]
	s_waitcnt lgkmcnt(0)
	s_barrier
	ds_write_b16 v0, v2
	ds_write_b16 v0, v3 offset:64
	ds_write_b16 v0, v5 offset:128
	ds_write_b16 v0, v6 offset:192
	s_waitcnt lgkmcnt(0)
	s_barrier
	ds_read_b64 v[2:3], v1
	v_mov_b64_e32 v[6:7], v[30:31]
	v_lshlrev_b32_e32 v5, 1, v4
	v_mov_b64_e32 v[8:9], v[32:33]
	s_waitcnt lgkmcnt(0)
	buffer_store_dwordx2 v[2:3], v5, s[4:7], 0 offen
	v_mov_b32_e32 v2, v6
	v_mov_b32_e32 v3, v7
	;; [unrolled: 1-line block ×4, first 2 shown]
	v_cvt_f16_f32_e32 v2, v2
	v_cvt_f16_f32_e32 v3, v3
	;; [unrolled: 1-line block ×4, first 2 shown]
	s_waitcnt lgkmcnt(0)
	s_barrier
	ds_write_b16 v0, v2
	ds_write_b16 v0, v3 offset:64
	ds_write_b16 v0, v6 offset:128
	;; [unrolled: 1-line block ×3, first 2 shown]
	s_waitcnt lgkmcnt(0)
	s_barrier
	ds_read_b64 v[2:3], v1
	v_accvgpr_read_b32 v6, a152
	v_accvgpr_read_b32 v7, a153
	v_cvt_f16_f32_e32 v6, v6
	v_cvt_f16_f32_e32 v7, v7
	s_waitcnt lgkmcnt(0)
	buffer_store_dwordx2 v[2:3], v5, s[4:7], 0 offen offset:64
	v_accvgpr_read_b32 v2, a150
	v_accvgpr_read_b32 v3, a151
	v_cvt_f16_f32_e32 v2, v2
	v_cvt_f16_f32_e32 v3, v3
	s_waitcnt lgkmcnt(0)
	s_barrier
	ds_write_b16 v0, v2
	ds_write_b16 v0, v3 offset:64
	ds_write_b16 v0, v6 offset:128
	;; [unrolled: 1-line block ×3, first 2 shown]
	s_waitcnt lgkmcnt(0)
	s_barrier
	ds_read_b64 v[2:3], v1
	v_mov_b64_e32 v[6:7], v[26:27]
	v_mov_b64_e32 v[8:9], v[28:29]
	s_waitcnt lgkmcnt(0)
	buffer_store_dwordx2 v[2:3], v5, s[4:7], 0 offen offset:128
	v_mov_b32_e32 v2, v6
	v_mov_b32_e32 v3, v7
	;; [unrolled: 1-line block ×4, first 2 shown]
	v_cvt_f16_f32_e32 v2, v2
	v_cvt_f16_f32_e32 v3, v3
	v_cvt_f16_f32_e32 v6, v6
	v_cvt_f16_f32_e32 v7, v7
	s_waitcnt lgkmcnt(0)
	s_barrier
	ds_write_b16 v0, v2
	ds_write_b16 v0, v3 offset:64
	ds_write_b16 v0, v6 offset:128
	ds_write_b16 v0, v7 offset:192
	s_waitcnt lgkmcnt(0)
	s_barrier
	ds_read_b64 v[2:3], v1
	v_accvgpr_read_b32 v6, a180
	v_accvgpr_read_b32 v7, a181
	v_cvt_f16_f32_e32 v6, v6
	v_cvt_f16_f32_e32 v7, v7
	s_waitcnt lgkmcnt(0)
	buffer_store_dwordx2 v[2:3], v5, s[4:7], 0 offen offset:192
	v_accvgpr_read_b32 v2, a178
	v_accvgpr_read_b32 v3, a179
	v_cvt_f16_f32_e32 v2, v2
	v_cvt_f16_f32_e32 v3, v3
	s_waitcnt lgkmcnt(0)
	s_barrier
	ds_write_b16 v0, v2
	ds_write_b16 v0, v3 offset:64
	ds_write_b16 v0, v6 offset:128
	ds_write_b16 v0, v7 offset:192
	s_waitcnt lgkmcnt(0)
	s_barrier
	ds_read_b64 v[2:3], v1
	v_accvgpr_read_b32 v6, a132
	v_accvgpr_read_b32 v7, a133
	v_cvt_f16_f32_e32 v6, v6
	v_cvt_f16_f32_e32 v7, v7
	s_waitcnt lgkmcnt(0)
	buffer_store_dwordx2 v[2:3], v5, s[4:7], 0 offen offset:256
	v_accvgpr_read_b32 v2, a130
	v_accvgpr_read_b32 v3, a131
	v_cvt_f16_f32_e32 v2, v2
	v_cvt_f16_f32_e32 v3, v3
	;; [unrolled: 19-line block ×3, first 2 shown]
	s_waitcnt lgkmcnt(0)
	s_barrier
	ds_write_b16 v0, v2
	ds_write_b16 v0, v3 offset:64
	ds_write_b16 v0, v6 offset:128
	;; [unrolled: 1-line block ×3, first 2 shown]
	s_waitcnt lgkmcnt(0)
	s_barrier
	ds_read_b64 v[2:3], v1
	v_accvgpr_read_b32 v6, a173
	v_cvt_f16_f32_e32 v6, v6
	v_accvgpr_read_b32 v7, a97
	v_cvt_f16_f32_e32 v7, v7
	s_waitcnt lgkmcnt(0)
	buffer_store_dwordx2 v[2:3], v5, s[4:7], 0 offen offset:384
	v_accvgpr_read_b32 v2, a170
	v_accvgpr_read_b32 v3, a171
	;; [unrolled: 1-line block ×3, first 2 shown]
	v_cvt_f16_f32_e32 v2, v2
	v_cvt_f16_f32_e32 v3, v3
	v_cvt_f16_f32_e32 v5, v5
	s_waitcnt lgkmcnt(0)
	s_barrier
	ds_write_b16 v0, v2
	ds_write_b16 v0, v3 offset:64
	ds_write_b16 v0, v5 offset:128
	;; [unrolled: 1-line block ×3, first 2 shown]
	s_waitcnt lgkmcnt(0)
	s_barrier
	ds_read_b64 v[2:3], v1
	v_add_u32_e32 v5, 0xe0, v4
	v_lshlrev_b32_e32 v6, 1, v5
	v_add_lshl_u32 v5, v5, s0, 1
	v_add_u32_e32 v4, s0, v4
	s_waitcnt lgkmcnt(0)
	buffer_store_dwordx2 v[2:3], v6, s[4:7], 0 offen
	v_accvgpr_read_b32 v2, a94
	v_accvgpr_read_b32 v3, a95
	v_accvgpr_read_b32 v6, a96
	v_cvt_f16_f32_e32 v2, v2
	v_cvt_f16_f32_e32 v3, v3
	;; [unrolled: 1-line block ×3, first 2 shown]
	s_waitcnt lgkmcnt(0)
	s_barrier
	ds_write_b16 v0, v2
	ds_write_b16 v0, v3 offset:64
	ds_write_b16 v0, v6 offset:128
	;; [unrolled: 1-line block ×3, first 2 shown]
	s_waitcnt lgkmcnt(0)
	s_barrier
	ds_read_b64 v[2:3], v1
	v_accvgpr_read_b32 v6, a108
	v_accvgpr_read_b32 v7, a109
	v_cvt_f16_f32_e32 v6, v6
	v_cvt_f16_f32_e32 v7, v7
	s_waitcnt lgkmcnt(0)
	buffer_store_dwordx2 v[2:3], v5, s[4:7], 0 offen
	v_accvgpr_read_b32 v2, a106
	v_accvgpr_read_b32 v3, a107
	v_cvt_f16_f32_e32 v2, v2
	v_cvt_f16_f32_e32 v3, v3
	s_waitcnt lgkmcnt(0)
	s_barrier
	ds_write_b16 v0, v2
	ds_write_b16 v0, v3 offset:64
	ds_write_b16 v0, v6 offset:128
	;; [unrolled: 1-line block ×3, first 2 shown]
	s_waitcnt lgkmcnt(0)
	s_barrier
	ds_read_b64 v[2:3], v1
	v_subrev_u32_e32 v6, 64, v5
	v_accvgpr_read_b32 v7, a117
	v_cvt_f16_f32_e32 v7, v7
	s_waitcnt lgkmcnt(0)
	buffer_store_dwordx2 v[2:3], v6, s[4:7], 0 offen
	v_accvgpr_read_b32 v2, a114
	v_accvgpr_read_b32 v3, a115
	v_accvgpr_read_b32 v6, a116
	v_cvt_f16_f32_e32 v2, v2
	v_cvt_f16_f32_e32 v3, v3
	v_cvt_f16_f32_e32 v6, v6
	s_waitcnt lgkmcnt(0)
	s_barrier
	ds_write_b16 v0, v2
	ds_write_b16 v0, v3 offset:64
	ds_write_b16 v0, v6 offset:128
	ds_write_b16 v0, v7 offset:192
	s_waitcnt lgkmcnt(0)
	s_barrier
	ds_read_b64 v[2:3], v1
	v_add_u32_e32 v6, 0xffffff80, v5
	v_accvgpr_read_b32 v7, a121
	v_cvt_f16_f32_e32 v7, v7
	s_waitcnt lgkmcnt(0)
	buffer_store_dwordx2 v[2:3], v6, s[4:7], 0 offen
	v_accvgpr_read_b32 v2, a118
	v_accvgpr_read_b32 v3, a119
	v_accvgpr_read_b32 v6, a120
	v_cvt_f16_f32_e32 v2, v2
	v_cvt_f16_f32_e32 v3, v3
	v_cvt_f16_f32_e32 v6, v6
	s_waitcnt lgkmcnt(0)
	s_barrier
	ds_write_b16 v0, v2
	ds_write_b16 v0, v3 offset:64
	ds_write_b16 v0, v6 offset:128
	ds_write_b16 v0, v7 offset:192
	s_waitcnt lgkmcnt(0)
	s_barrier
	ds_read_b64 v[2:3], v1
	v_add_u32_e32 v6, 0xffffff40, v5
	;; [unrolled: 20-line block ×4, first 2 shown]
	v_accvgpr_read_b32 v7, a161
	v_cvt_f16_f32_e32 v7, v7
	v_add_u32_e32 v5, 0xfffffe80, v5
	s_waitcnt lgkmcnt(0)
	buffer_store_dwordx2 v[2:3], v6, s[4:7], 0 offen
	v_accvgpr_read_b32 v2, a158
	v_accvgpr_read_b32 v3, a159
	;; [unrolled: 1-line block ×3, first 2 shown]
	v_cvt_f16_f32_e32 v2, v2
	v_cvt_f16_f32_e32 v3, v3
	;; [unrolled: 1-line block ×3, first 2 shown]
	s_waitcnt lgkmcnt(0)
	s_barrier
	ds_write_b16 v0, v2
	ds_write_b16 v0, v3 offset:64
	ds_write_b16 v0, v6 offset:128
	;; [unrolled: 1-line block ×3, first 2 shown]
	s_waitcnt lgkmcnt(0)
	s_barrier
	ds_read_b64 v[2:3], v1
	v_accvgpr_read_b32 v6, a145
	v_cvt_f16_f32_e32 v6, v6
	v_accvgpr_read_b32 v7, a141
	v_cvt_f16_f32_e32 v7, v7
	s_waitcnt lgkmcnt(0)
	buffer_store_dwordx2 v[2:3], v5, s[4:7], 0 offen
	v_accvgpr_read_b32 v2, a142
	v_accvgpr_read_b32 v3, a143
	;; [unrolled: 1-line block ×3, first 2 shown]
	v_cvt_f16_f32_e32 v2, v2
	v_cvt_f16_f32_e32 v3, v3
	;; [unrolled: 1-line block ×3, first 2 shown]
	s_waitcnt lgkmcnt(0)
	s_barrier
	ds_write_b16 v0, v2
	ds_write_b16 v0, v3 offset:64
	ds_write_b16 v0, v5 offset:128
	;; [unrolled: 1-line block ×3, first 2 shown]
	s_waitcnt lgkmcnt(0)
	s_barrier
	ds_read_b64 v[2:3], v1
	v_lshlrev_b32_e32 v5, 1, v4
	v_accvgpr_read_b32 v6, a85
	v_cvt_f16_f32_e32 v6, v6
	v_add_u32_e32 v4, s0, v4
	s_waitcnt lgkmcnt(0)
	buffer_store_dwordx2 v[2:3], v5, s[4:7], 0 offen
	v_accvgpr_read_b32 v2, a82
	v_accvgpr_read_b32 v3, a83
	;; [unrolled: 1-line block ×3, first 2 shown]
	v_cvt_f16_f32_e32 v2, v2
	v_cvt_f16_f32_e32 v3, v3
	;; [unrolled: 1-line block ×3, first 2 shown]
	s_waitcnt lgkmcnt(0)
	s_barrier
	ds_write_b16 v0, v2
	ds_write_b16 v0, v3 offset:64
	ds_write_b16 v0, v5 offset:128
	ds_write_b16 v0, v6 offset:192
	s_waitcnt lgkmcnt(0)
	s_barrier
	ds_read_b64 v[2:3], v1
	v_lshlrev_b32_e32 v5, 1, v4
	v_accvgpr_read_b32 v6, a140
	v_cvt_f16_f32_e32 v6, v6
	s_waitcnt lgkmcnt(0)
	buffer_store_dwordx2 v[2:3], v5, s[4:7], 0 offen
	v_accvgpr_read_b32 v2, a138
	v_accvgpr_read_b32 v3, a139
	v_cvt_f16_f32_e32 v2, v2
	v_cvt_f16_f32_e32 v3, v3
	s_waitcnt lgkmcnt(0)
	s_barrier
	ds_write_b16 v0, v2
	ds_write_b16 v0, v3 offset:64
	ds_write_b16 v0, v6 offset:128
	ds_write_b16 v0, v7 offset:192
	s_waitcnt lgkmcnt(0)
	s_barrier
	ds_read_b64 v[2:3], v1
	v_accvgpr_read_b32 v6, a176
	v_accvgpr_read_b32 v7, a177
	v_cvt_f16_f32_e32 v6, v6
	v_cvt_f16_f32_e32 v7, v7
	s_waitcnt lgkmcnt(0)
	buffer_store_dwordx2 v[2:3], v5, s[4:7], 0 offen offset:64
	v_accvgpr_read_b32 v2, a174
	v_accvgpr_read_b32 v3, a175
	v_cvt_f16_f32_e32 v2, v2
	v_cvt_f16_f32_e32 v3, v3
	s_waitcnt lgkmcnt(0)
	s_barrier
	ds_write_b16 v0, v2
	ds_write_b16 v0, v3 offset:64
	ds_write_b16 v0, v6 offset:128
	ds_write_b16 v0, v7 offset:192
	s_waitcnt lgkmcnt(0)
	s_barrier
	ds_read_b64 v[2:3], v1
	v_accvgpr_read_b32 v6, a90
	v_accvgpr_read_b32 v7, a91
	v_cvt_f16_f32_e32 v6, v6
	v_cvt_f16_f32_e32 v7, v7
	s_waitcnt lgkmcnt(0)
	buffer_store_dwordx2 v[2:3], v5, s[4:7], 0 offen offset:128
	;; [unrolled: 19-line block ×5, first 2 shown]
	v_accvgpr_read_b32 v2, a64
	v_accvgpr_read_b32 v3, a65
	v_cvt_f16_f32_e32 v2, v2
	v_cvt_f16_f32_e32 v3, v3
	s_waitcnt lgkmcnt(0)
	s_barrier
	ds_write_b16 v0, v2
	ds_write_b16 v0, v3 offset:64
	ds_write_b16 v0, v6 offset:128
	;; [unrolled: 1-line block ×3, first 2 shown]
	s_waitcnt lgkmcnt(0)
	s_barrier
	ds_read_b64 v[2:3], v1
	v_accvgpr_read_b32 v6, a113
	v_cvt_f16_f32_e32 v6, v6
	v_accvgpr_read_b32 v7, a43
	v_cvt_f16_f32_e32 v7, v7
	s_waitcnt lgkmcnt(0)
	buffer_store_dwordx2 v[2:3], v5, s[4:7], 0 offen offset:384
	v_accvgpr_read_b32 v2, a110
	v_accvgpr_read_b32 v3, a111
	;; [unrolled: 1-line block ×3, first 2 shown]
	v_cvt_f16_f32_e32 v2, v2
	v_cvt_f16_f32_e32 v3, v3
	;; [unrolled: 1-line block ×3, first 2 shown]
	s_waitcnt lgkmcnt(0)
	s_barrier
	ds_write_b16 v0, v2
	ds_write_b16 v0, v3 offset:64
	ds_write_b16 v0, v5 offset:128
	;; [unrolled: 1-line block ×3, first 2 shown]
	s_waitcnt lgkmcnt(0)
	s_barrier
	ds_read_b64 v[2:3], v1
	v_add_u32_e32 v5, 0xe0, v4
	v_lshlrev_b32_e32 v6, 1, v5
	v_add_lshl_u32 v5, v5, s0, 1
	s_waitcnt lgkmcnt(0)
	buffer_store_dwordx2 v[2:3], v6, s[4:7], 0 offen
	v_accvgpr_read_b32 v2, a40
	v_accvgpr_read_b32 v3, a41
	;; [unrolled: 1-line block ×3, first 2 shown]
	v_cvt_f16_f32_e32 v2, v2
	v_cvt_f16_f32_e32 v3, v3
	;; [unrolled: 1-line block ×3, first 2 shown]
	s_waitcnt lgkmcnt(0)
	s_barrier
	ds_write_b16 v0, v2
	ds_write_b16 v0, v3 offset:64
	ds_write_b16 v0, v6 offset:128
	;; [unrolled: 1-line block ×3, first 2 shown]
	s_waitcnt lgkmcnt(0)
	s_barrier
	ds_read_b64 v[2:3], v1
	v_accvgpr_read_b32 v6, a58
	v_accvgpr_read_b32 v7, a59
	v_cvt_f16_f32_e32 v6, v6
	v_cvt_f16_f32_e32 v7, v7
	s_waitcnt lgkmcnt(0)
	buffer_store_dwordx2 v[2:3], v5, s[4:7], 0 offen
	v_accvgpr_read_b32 v2, a56
	v_accvgpr_read_b32 v3, a57
	v_cvt_f16_f32_e32 v2, v2
	v_cvt_f16_f32_e32 v3, v3
	s_waitcnt lgkmcnt(0)
	s_barrier
	ds_write_b16 v0, v2
	ds_write_b16 v0, v3 offset:64
	ds_write_b16 v0, v6 offset:128
	;; [unrolled: 1-line block ×3, first 2 shown]
	s_waitcnt lgkmcnt(0)
	s_barrier
	ds_read_b64 v[2:3], v1
	v_subrev_u32_e32 v6, 64, v5
	v_accvgpr_read_b32 v7, a55
	v_cvt_f16_f32_e32 v7, v7
	s_waitcnt lgkmcnt(0)
	buffer_store_dwordx2 v[2:3], v6, s[4:7], 0 offen
	v_accvgpr_read_b32 v2, a52
	v_accvgpr_read_b32 v3, a53
	v_accvgpr_read_b32 v6, a54
	v_cvt_f16_f32_e32 v2, v2
	v_cvt_f16_f32_e32 v3, v3
	v_cvt_f16_f32_e32 v6, v6
	s_waitcnt lgkmcnt(0)
	s_barrier
	ds_write_b16 v0, v2
	ds_write_b16 v0, v3 offset:64
	ds_write_b16 v0, v6 offset:128
	ds_write_b16 v0, v7 offset:192
	s_waitcnt lgkmcnt(0)
	s_barrier
	ds_read_b64 v[2:3], v1
	v_add_u32_e32 v6, 0xffffff80, v5
	v_accvgpr_read_b32 v7, a39
	v_cvt_f16_f32_e32 v7, v7
	s_waitcnt lgkmcnt(0)
	buffer_store_dwordx2 v[2:3], v6, s[4:7], 0 offen
	v_accvgpr_read_b32 v2, a36
	v_accvgpr_read_b32 v3, a37
	v_accvgpr_read_b32 v6, a38
	v_cvt_f16_f32_e32 v2, v2
	v_cvt_f16_f32_e32 v3, v3
	v_cvt_f16_f32_e32 v6, v6
	s_waitcnt lgkmcnt(0)
	s_barrier
	ds_write_b16 v0, v2
	ds_write_b16 v0, v3 offset:64
	ds_write_b16 v0, v6 offset:128
	ds_write_b16 v0, v7 offset:192
	s_waitcnt lgkmcnt(0)
	s_barrier
	ds_read_b64 v[2:3], v1
	v_add_u32_e32 v6, 0xffffff40, v5
	;; [unrolled: 20-line block ×4, first 2 shown]
	v_accvgpr_read_b32 v7, a77
	v_cvt_f16_f32_e32 v7, v7
	v_add_u32_e32 v5, 0xfffffe80, v5
	s_waitcnt lgkmcnt(0)
	buffer_store_dwordx2 v[2:3], v6, s[4:7], 0 offen
	v_accvgpr_read_b32 v2, a74
	v_accvgpr_read_b32 v3, a75
	;; [unrolled: 1-line block ×3, first 2 shown]
	v_cvt_f16_f32_e32 v2, v2
	v_cvt_f16_f32_e32 v3, v3
	;; [unrolled: 1-line block ×3, first 2 shown]
	s_waitcnt lgkmcnt(0)
	s_barrier
	ds_write_b16 v0, v2
	ds_write_b16 v0, v3 offset:64
	ds_write_b16 v0, v6 offset:128
	;; [unrolled: 1-line block ×3, first 2 shown]
	s_waitcnt lgkmcnt(0)
	s_barrier
	ds_read_b64 v[2:3], v1
	v_accvgpr_read_b32 v6, a51
	v_cvt_f16_f32_e32 v6, v6
	s_waitcnt lgkmcnt(0)
	buffer_store_dwordx2 v[2:3], v5, s[4:7], 0 offen
	v_accvgpr_read_b32 v2, a48
	v_accvgpr_read_b32 v3, a49
	;; [unrolled: 1-line block ×3, first 2 shown]
	v_cvt_f16_f32_e32 v2, v2
	v_cvt_f16_f32_e32 v3, v3
	;; [unrolled: 1-line block ×3, first 2 shown]
	s_waitcnt lgkmcnt(0)
	s_barrier
	ds_write_b16 v0, v2
	ds_write_b16 v0, v3 offset:64
	ds_write_b16 v0, v5 offset:128
	;; [unrolled: 1-line block ×3, first 2 shown]
	s_waitcnt lgkmcnt(0)
	s_barrier
	ds_read_b64 v[0:1], v1
	v_add_lshl_u32 v2, v4, s0, 1
	s_waitcnt lgkmcnt(0)
	buffer_store_dwordx2 v[0:1], v2, s[4:7], 0 offen
	s_endpgm
	.section	.rodata,"a",@progbits
	.p2align	6, 0x0
	.amdhsa_kernel _ZN2ck27kernel_gemm_xdl_cshuffle_v2INS_28GridwiseGemm_xdl_cshuffle_v2INS_13tensor_layout4gemm8RowMajorES4_S4_DF16_DF16_fDF16_DF16_NS_16tensor_operation12element_wise11PassThroughES7_S7_LNS5_6device18GemmSpecializationE0ELNS_25InMemoryDataOperationEnumE0ELi2ELi256ELi256ELi256ELi32ELi8ELi4ELi16ELi16ELi8ELi8ENS_8SequenceIJLi4ELi64ELi1EEEENSB_IJLi1ELi0ELi2EEEESD_Li2ELi8ELi8ELb0ELi0ENSB_IJLi8ELi32ELi1EEEENSB_IJLi0ELi2ELi1EEEESF_Li1ELi8ELi4ELb0ELi0ELi1ELi1ENSB_IJLi1ELi32ELi1ELi8EEEELi4ELNS_13LoopSchedulerE0ELNS_15PipelineVersionE0EDF16_DF16_EELb1ELi2EEEvNT_8ArgumentE
		.amdhsa_group_segment_fixed_size 65536
		.amdhsa_private_segment_fixed_size 0
		.amdhsa_kernarg_size 96
		.amdhsa_user_sgpr_count 2
		.amdhsa_user_sgpr_dispatch_ptr 0
		.amdhsa_user_sgpr_queue_ptr 0
		.amdhsa_user_sgpr_kernarg_segment_ptr 1
		.amdhsa_user_sgpr_dispatch_id 0
		.amdhsa_user_sgpr_kernarg_preload_length 0
		.amdhsa_user_sgpr_kernarg_preload_offset 0
		.amdhsa_user_sgpr_private_segment_size 0
		.amdhsa_uses_dynamic_stack 0
		.amdhsa_enable_private_segment 0
		.amdhsa_system_sgpr_workgroup_id_x 1
		.amdhsa_system_sgpr_workgroup_id_y 0
		.amdhsa_system_sgpr_workgroup_id_z 0
		.amdhsa_system_sgpr_workgroup_info 0
		.amdhsa_system_vgpr_workitem_id 0
		.amdhsa_next_free_vgpr 480
		.amdhsa_next_free_sgpr 96
		.amdhsa_accum_offset 224
		.amdhsa_reserve_vcc 0
		.amdhsa_float_round_mode_32 0
		.amdhsa_float_round_mode_16_64 0
		.amdhsa_float_denorm_mode_32 3
		.amdhsa_float_denorm_mode_16_64 3
		.amdhsa_dx10_clamp 1
		.amdhsa_ieee_mode 1
		.amdhsa_fp16_overflow 0
		.amdhsa_tg_split 0
		.amdhsa_exception_fp_ieee_invalid_op 0
		.amdhsa_exception_fp_denorm_src 0
		.amdhsa_exception_fp_ieee_div_zero 0
		.amdhsa_exception_fp_ieee_overflow 0
		.amdhsa_exception_fp_ieee_underflow 0
		.amdhsa_exception_fp_ieee_inexact 0
		.amdhsa_exception_int_div_zero 0
	.end_amdhsa_kernel
	.section	.text._ZN2ck27kernel_gemm_xdl_cshuffle_v2INS_28GridwiseGemm_xdl_cshuffle_v2INS_13tensor_layout4gemm8RowMajorES4_S4_DF16_DF16_fDF16_DF16_NS_16tensor_operation12element_wise11PassThroughES7_S7_LNS5_6device18GemmSpecializationE0ELNS_25InMemoryDataOperationEnumE0ELi2ELi256ELi256ELi256ELi32ELi8ELi4ELi16ELi16ELi8ELi8ENS_8SequenceIJLi4ELi64ELi1EEEENSB_IJLi1ELi0ELi2EEEESD_Li2ELi8ELi8ELb0ELi0ENSB_IJLi8ELi32ELi1EEEENSB_IJLi0ELi2ELi1EEEESF_Li1ELi8ELi4ELb0ELi0ELi1ELi1ENSB_IJLi1ELi32ELi1ELi8EEEELi4ELNS_13LoopSchedulerE0ELNS_15PipelineVersionE0EDF16_DF16_EELb1ELi2EEEvNT_8ArgumentE,"axG",@progbits,_ZN2ck27kernel_gemm_xdl_cshuffle_v2INS_28GridwiseGemm_xdl_cshuffle_v2INS_13tensor_layout4gemm8RowMajorES4_S4_DF16_DF16_fDF16_DF16_NS_16tensor_operation12element_wise11PassThroughES7_S7_LNS5_6device18GemmSpecializationE0ELNS_25InMemoryDataOperationEnumE0ELi2ELi256ELi256ELi256ELi32ELi8ELi4ELi16ELi16ELi8ELi8ENS_8SequenceIJLi4ELi64ELi1EEEENSB_IJLi1ELi0ELi2EEEESD_Li2ELi8ELi8ELb0ELi0ENSB_IJLi8ELi32ELi1EEEENSB_IJLi0ELi2ELi1EEEESF_Li1ELi8ELi4ELb0ELi0ELi1ELi1ENSB_IJLi1ELi32ELi1ELi8EEEELi4ELNS_13LoopSchedulerE0ELNS_15PipelineVersionE0EDF16_DF16_EELb1ELi2EEEvNT_8ArgumentE,comdat
.Lfunc_end2:
	.size	_ZN2ck27kernel_gemm_xdl_cshuffle_v2INS_28GridwiseGemm_xdl_cshuffle_v2INS_13tensor_layout4gemm8RowMajorES4_S4_DF16_DF16_fDF16_DF16_NS_16tensor_operation12element_wise11PassThroughES7_S7_LNS5_6device18GemmSpecializationE0ELNS_25InMemoryDataOperationEnumE0ELi2ELi256ELi256ELi256ELi32ELi8ELi4ELi16ELi16ELi8ELi8ENS_8SequenceIJLi4ELi64ELi1EEEENSB_IJLi1ELi0ELi2EEEESD_Li2ELi8ELi8ELb0ELi0ENSB_IJLi8ELi32ELi1EEEENSB_IJLi0ELi2ELi1EEEESF_Li1ELi8ELi4ELb0ELi0ELi1ELi1ENSB_IJLi1ELi32ELi1ELi8EEEELi4ELNS_13LoopSchedulerE0ELNS_15PipelineVersionE0EDF16_DF16_EELb1ELi2EEEvNT_8ArgumentE, .Lfunc_end2-_ZN2ck27kernel_gemm_xdl_cshuffle_v2INS_28GridwiseGemm_xdl_cshuffle_v2INS_13tensor_layout4gemm8RowMajorES4_S4_DF16_DF16_fDF16_DF16_NS_16tensor_operation12element_wise11PassThroughES7_S7_LNS5_6device18GemmSpecializationE0ELNS_25InMemoryDataOperationEnumE0ELi2ELi256ELi256ELi256ELi32ELi8ELi4ELi16ELi16ELi8ELi8ENS_8SequenceIJLi4ELi64ELi1EEEENSB_IJLi1ELi0ELi2EEEESD_Li2ELi8ELi8ELb0ELi0ENSB_IJLi8ELi32ELi1EEEENSB_IJLi0ELi2ELi1EEEESF_Li1ELi8ELi4ELb0ELi0ELi1ELi1ENSB_IJLi1ELi32ELi1ELi8EEEELi4ELNS_13LoopSchedulerE0ELNS_15PipelineVersionE0EDF16_DF16_EELb1ELi2EEEvNT_8ArgumentE
                                        ; -- End function
	.set _ZN2ck27kernel_gemm_xdl_cshuffle_v2INS_28GridwiseGemm_xdl_cshuffle_v2INS_13tensor_layout4gemm8RowMajorES4_S4_DF16_DF16_fDF16_DF16_NS_16tensor_operation12element_wise11PassThroughES7_S7_LNS5_6device18GemmSpecializationE0ELNS_25InMemoryDataOperationEnumE0ELi2ELi256ELi256ELi256ELi32ELi8ELi4ELi16ELi16ELi8ELi8ENS_8SequenceIJLi4ELi64ELi1EEEENSB_IJLi1ELi0ELi2EEEESD_Li2ELi8ELi8ELb0ELi0ENSB_IJLi8ELi32ELi1EEEENSB_IJLi0ELi2ELi1EEEESF_Li1ELi8ELi4ELb0ELi0ELi1ELi1ENSB_IJLi1ELi32ELi1ELi8EEEELi4ELNS_13LoopSchedulerE0ELNS_15PipelineVersionE0EDF16_DF16_EELb1ELi2EEEvNT_8ArgumentE.num_vgpr, 222
	.set _ZN2ck27kernel_gemm_xdl_cshuffle_v2INS_28GridwiseGemm_xdl_cshuffle_v2INS_13tensor_layout4gemm8RowMajorES4_S4_DF16_DF16_fDF16_DF16_NS_16tensor_operation12element_wise11PassThroughES7_S7_LNS5_6device18GemmSpecializationE0ELNS_25InMemoryDataOperationEnumE0ELi2ELi256ELi256ELi256ELi32ELi8ELi4ELi16ELi16ELi8ELi8ENS_8SequenceIJLi4ELi64ELi1EEEENSB_IJLi1ELi0ELi2EEEESD_Li2ELi8ELi8ELb0ELi0ENSB_IJLi8ELi32ELi1EEEENSB_IJLi0ELi2ELi1EEEESF_Li1ELi8ELi4ELb0ELi0ELi1ELi1ENSB_IJLi1ELi32ELi1ELi8EEEELi4ELNS_13LoopSchedulerE0ELNS_15PipelineVersionE0EDF16_DF16_EELb1ELi2EEEvNT_8ArgumentE.num_agpr, 256
	.set _ZN2ck27kernel_gemm_xdl_cshuffle_v2INS_28GridwiseGemm_xdl_cshuffle_v2INS_13tensor_layout4gemm8RowMajorES4_S4_DF16_DF16_fDF16_DF16_NS_16tensor_operation12element_wise11PassThroughES7_S7_LNS5_6device18GemmSpecializationE0ELNS_25InMemoryDataOperationEnumE0ELi2ELi256ELi256ELi256ELi32ELi8ELi4ELi16ELi16ELi8ELi8ENS_8SequenceIJLi4ELi64ELi1EEEENSB_IJLi1ELi0ELi2EEEESD_Li2ELi8ELi8ELb0ELi0ENSB_IJLi8ELi32ELi1EEEENSB_IJLi0ELi2ELi1EEEESF_Li1ELi8ELi4ELb0ELi0ELi1ELi1ENSB_IJLi1ELi32ELi1ELi8EEEELi4ELNS_13LoopSchedulerE0ELNS_15PipelineVersionE0EDF16_DF16_EELb1ELi2EEEvNT_8ArgumentE.numbered_sgpr, 31
	.set _ZN2ck27kernel_gemm_xdl_cshuffle_v2INS_28GridwiseGemm_xdl_cshuffle_v2INS_13tensor_layout4gemm8RowMajorES4_S4_DF16_DF16_fDF16_DF16_NS_16tensor_operation12element_wise11PassThroughES7_S7_LNS5_6device18GemmSpecializationE0ELNS_25InMemoryDataOperationEnumE0ELi2ELi256ELi256ELi256ELi32ELi8ELi4ELi16ELi16ELi8ELi8ENS_8SequenceIJLi4ELi64ELi1EEEENSB_IJLi1ELi0ELi2EEEESD_Li2ELi8ELi8ELb0ELi0ENSB_IJLi8ELi32ELi1EEEENSB_IJLi0ELi2ELi1EEEESF_Li1ELi8ELi4ELb0ELi0ELi1ELi1ENSB_IJLi1ELi32ELi1ELi8EEEELi4ELNS_13LoopSchedulerE0ELNS_15PipelineVersionE0EDF16_DF16_EELb1ELi2EEEvNT_8ArgumentE.num_named_barrier, 0
	.set _ZN2ck27kernel_gemm_xdl_cshuffle_v2INS_28GridwiseGemm_xdl_cshuffle_v2INS_13tensor_layout4gemm8RowMajorES4_S4_DF16_DF16_fDF16_DF16_NS_16tensor_operation12element_wise11PassThroughES7_S7_LNS5_6device18GemmSpecializationE0ELNS_25InMemoryDataOperationEnumE0ELi2ELi256ELi256ELi256ELi32ELi8ELi4ELi16ELi16ELi8ELi8ENS_8SequenceIJLi4ELi64ELi1EEEENSB_IJLi1ELi0ELi2EEEESD_Li2ELi8ELi8ELb0ELi0ENSB_IJLi8ELi32ELi1EEEENSB_IJLi0ELi2ELi1EEEESF_Li1ELi8ELi4ELb0ELi0ELi1ELi1ENSB_IJLi1ELi32ELi1ELi8EEEELi4ELNS_13LoopSchedulerE0ELNS_15PipelineVersionE0EDF16_DF16_EELb1ELi2EEEvNT_8ArgumentE.private_seg_size, 0
	.set _ZN2ck27kernel_gemm_xdl_cshuffle_v2INS_28GridwiseGemm_xdl_cshuffle_v2INS_13tensor_layout4gemm8RowMajorES4_S4_DF16_DF16_fDF16_DF16_NS_16tensor_operation12element_wise11PassThroughES7_S7_LNS5_6device18GemmSpecializationE0ELNS_25InMemoryDataOperationEnumE0ELi2ELi256ELi256ELi256ELi32ELi8ELi4ELi16ELi16ELi8ELi8ENS_8SequenceIJLi4ELi64ELi1EEEENSB_IJLi1ELi0ELi2EEEESD_Li2ELi8ELi8ELb0ELi0ENSB_IJLi8ELi32ELi1EEEENSB_IJLi0ELi2ELi1EEEESF_Li1ELi8ELi4ELb0ELi0ELi1ELi1ENSB_IJLi1ELi32ELi1ELi8EEEELi4ELNS_13LoopSchedulerE0ELNS_15PipelineVersionE0EDF16_DF16_EELb1ELi2EEEvNT_8ArgumentE.uses_vcc, 0
	.set _ZN2ck27kernel_gemm_xdl_cshuffle_v2INS_28GridwiseGemm_xdl_cshuffle_v2INS_13tensor_layout4gemm8RowMajorES4_S4_DF16_DF16_fDF16_DF16_NS_16tensor_operation12element_wise11PassThroughES7_S7_LNS5_6device18GemmSpecializationE0ELNS_25InMemoryDataOperationEnumE0ELi2ELi256ELi256ELi256ELi32ELi8ELi4ELi16ELi16ELi8ELi8ENS_8SequenceIJLi4ELi64ELi1EEEENSB_IJLi1ELi0ELi2EEEESD_Li2ELi8ELi8ELb0ELi0ENSB_IJLi8ELi32ELi1EEEENSB_IJLi0ELi2ELi1EEEESF_Li1ELi8ELi4ELb0ELi0ELi1ELi1ENSB_IJLi1ELi32ELi1ELi8EEEELi4ELNS_13LoopSchedulerE0ELNS_15PipelineVersionE0EDF16_DF16_EELb1ELi2EEEvNT_8ArgumentE.uses_flat_scratch, 0
	.set _ZN2ck27kernel_gemm_xdl_cshuffle_v2INS_28GridwiseGemm_xdl_cshuffle_v2INS_13tensor_layout4gemm8RowMajorES4_S4_DF16_DF16_fDF16_DF16_NS_16tensor_operation12element_wise11PassThroughES7_S7_LNS5_6device18GemmSpecializationE0ELNS_25InMemoryDataOperationEnumE0ELi2ELi256ELi256ELi256ELi32ELi8ELi4ELi16ELi16ELi8ELi8ENS_8SequenceIJLi4ELi64ELi1EEEENSB_IJLi1ELi0ELi2EEEESD_Li2ELi8ELi8ELb0ELi0ENSB_IJLi8ELi32ELi1EEEENSB_IJLi0ELi2ELi1EEEESF_Li1ELi8ELi4ELb0ELi0ELi1ELi1ENSB_IJLi1ELi32ELi1ELi8EEEELi4ELNS_13LoopSchedulerE0ELNS_15PipelineVersionE0EDF16_DF16_EELb1ELi2EEEvNT_8ArgumentE.has_dyn_sized_stack, 0
	.set _ZN2ck27kernel_gemm_xdl_cshuffle_v2INS_28GridwiseGemm_xdl_cshuffle_v2INS_13tensor_layout4gemm8RowMajorES4_S4_DF16_DF16_fDF16_DF16_NS_16tensor_operation12element_wise11PassThroughES7_S7_LNS5_6device18GemmSpecializationE0ELNS_25InMemoryDataOperationEnumE0ELi2ELi256ELi256ELi256ELi32ELi8ELi4ELi16ELi16ELi8ELi8ENS_8SequenceIJLi4ELi64ELi1EEEENSB_IJLi1ELi0ELi2EEEESD_Li2ELi8ELi8ELb0ELi0ENSB_IJLi8ELi32ELi1EEEENSB_IJLi0ELi2ELi1EEEESF_Li1ELi8ELi4ELb0ELi0ELi1ELi1ENSB_IJLi1ELi32ELi1ELi8EEEELi4ELNS_13LoopSchedulerE0ELNS_15PipelineVersionE0EDF16_DF16_EELb1ELi2EEEvNT_8ArgumentE.has_recursion, 0
	.set _ZN2ck27kernel_gemm_xdl_cshuffle_v2INS_28GridwiseGemm_xdl_cshuffle_v2INS_13tensor_layout4gemm8RowMajorES4_S4_DF16_DF16_fDF16_DF16_NS_16tensor_operation12element_wise11PassThroughES7_S7_LNS5_6device18GemmSpecializationE0ELNS_25InMemoryDataOperationEnumE0ELi2ELi256ELi256ELi256ELi32ELi8ELi4ELi16ELi16ELi8ELi8ENS_8SequenceIJLi4ELi64ELi1EEEENSB_IJLi1ELi0ELi2EEEESD_Li2ELi8ELi8ELb0ELi0ENSB_IJLi8ELi32ELi1EEEENSB_IJLi0ELi2ELi1EEEESF_Li1ELi8ELi4ELb0ELi0ELi1ELi1ENSB_IJLi1ELi32ELi1ELi8EEEELi4ELNS_13LoopSchedulerE0ELNS_15PipelineVersionE0EDF16_DF16_EELb1ELi2EEEvNT_8ArgumentE.has_indirect_call, 0
	.section	.AMDGPU.csdata,"",@progbits
; Kernel info:
; codeLenInByte = 19584
; TotalNumSgprs: 37
; NumVgprs: 222
; NumAgprs: 256
; TotalNumVgprs: 480
; ScratchSize: 0
; MemoryBound: 0
; FloatMode: 240
; IeeeMode: 1
; LDSByteSize: 65536 bytes/workgroup (compile time only)
; SGPRBlocks: 12
; VGPRBlocks: 59
; NumSGPRsForWavesPerEU: 102
; NumVGPRsForWavesPerEU: 480
; AccumOffset: 224
; Occupancy: 1
; WaveLimiterHint : 0
; COMPUTE_PGM_RSRC2:SCRATCH_EN: 0
; COMPUTE_PGM_RSRC2:USER_SGPR: 2
; COMPUTE_PGM_RSRC2:TRAP_HANDLER: 0
; COMPUTE_PGM_RSRC2:TGID_X_EN: 1
; COMPUTE_PGM_RSRC2:TGID_Y_EN: 0
; COMPUTE_PGM_RSRC2:TGID_Z_EN: 0
; COMPUTE_PGM_RSRC2:TIDIG_COMP_CNT: 0
; COMPUTE_PGM_RSRC3_GFX90A:ACCUM_OFFSET: 55
; COMPUTE_PGM_RSRC3_GFX90A:TG_SPLIT: 0
	.section	.text._ZN2ck27kernel_gemm_xdl_cshuffle_v2INS_28GridwiseGemm_xdl_cshuffle_v2INS_13tensor_layout4gemm8RowMajorES4_S4_DF16_DF16_fDF16_DF16_NS_16tensor_operation12element_wise11PassThroughES7_S7_LNS5_6device18GemmSpecializationE0ELNS_25InMemoryDataOperationEnumE0ELi2ELi256ELi256ELi256ELi32ELi8ELi4ELi16ELi16ELi8ELi4ENS_8SequenceIJLi4ELi64ELi1EEEENSB_IJLi1ELi0ELi2EEEESD_Li2ELi8ELi8ELb0ELi0ENSB_IJLi8ELi32ELi1EEEENSB_IJLi0ELi2ELi1EEEESF_Li1ELi8ELi4ELb0ELi0ELi1ELi1ENSB_IJLi1ELi32ELi1ELi8EEEELi4ELNS_13LoopSchedulerE0ELNS_15PipelineVersionE0EDF16_DF16_EELb1ELi3EEEvNT_8ArgumentE,"axG",@progbits,_ZN2ck27kernel_gemm_xdl_cshuffle_v2INS_28GridwiseGemm_xdl_cshuffle_v2INS_13tensor_layout4gemm8RowMajorES4_S4_DF16_DF16_fDF16_DF16_NS_16tensor_operation12element_wise11PassThroughES7_S7_LNS5_6device18GemmSpecializationE0ELNS_25InMemoryDataOperationEnumE0ELi2ELi256ELi256ELi256ELi32ELi8ELi4ELi16ELi16ELi8ELi4ENS_8SequenceIJLi4ELi64ELi1EEEENSB_IJLi1ELi0ELi2EEEESD_Li2ELi8ELi8ELb0ELi0ENSB_IJLi8ELi32ELi1EEEENSB_IJLi0ELi2ELi1EEEESF_Li1ELi8ELi4ELb0ELi0ELi1ELi1ENSB_IJLi1ELi32ELi1ELi8EEEELi4ELNS_13LoopSchedulerE0ELNS_15PipelineVersionE0EDF16_DF16_EELb1ELi3EEEvNT_8ArgumentE,comdat
	.protected	_ZN2ck27kernel_gemm_xdl_cshuffle_v2INS_28GridwiseGemm_xdl_cshuffle_v2INS_13tensor_layout4gemm8RowMajorES4_S4_DF16_DF16_fDF16_DF16_NS_16tensor_operation12element_wise11PassThroughES7_S7_LNS5_6device18GemmSpecializationE0ELNS_25InMemoryDataOperationEnumE0ELi2ELi256ELi256ELi256ELi32ELi8ELi4ELi16ELi16ELi8ELi4ENS_8SequenceIJLi4ELi64ELi1EEEENSB_IJLi1ELi0ELi2EEEESD_Li2ELi8ELi8ELb0ELi0ENSB_IJLi8ELi32ELi1EEEENSB_IJLi0ELi2ELi1EEEESF_Li1ELi8ELi4ELb0ELi0ELi1ELi1ENSB_IJLi1ELi32ELi1ELi8EEEELi4ELNS_13LoopSchedulerE0ELNS_15PipelineVersionE0EDF16_DF16_EELb1ELi3EEEvNT_8ArgumentE ; -- Begin function _ZN2ck27kernel_gemm_xdl_cshuffle_v2INS_28GridwiseGemm_xdl_cshuffle_v2INS_13tensor_layout4gemm8RowMajorES4_S4_DF16_DF16_fDF16_DF16_NS_16tensor_operation12element_wise11PassThroughES7_S7_LNS5_6device18GemmSpecializationE0ELNS_25InMemoryDataOperationEnumE0ELi2ELi256ELi256ELi256ELi32ELi8ELi4ELi16ELi16ELi8ELi4ENS_8SequenceIJLi4ELi64ELi1EEEENSB_IJLi1ELi0ELi2EEEESD_Li2ELi8ELi8ELb0ELi0ENSB_IJLi8ELi32ELi1EEEENSB_IJLi0ELi2ELi1EEEESF_Li1ELi8ELi4ELb0ELi0ELi1ELi1ENSB_IJLi1ELi32ELi1ELi8EEEELi4ELNS_13LoopSchedulerE0ELNS_15PipelineVersionE0EDF16_DF16_EELb1ELi3EEEvNT_8ArgumentE
	.globl	_ZN2ck27kernel_gemm_xdl_cshuffle_v2INS_28GridwiseGemm_xdl_cshuffle_v2INS_13tensor_layout4gemm8RowMajorES4_S4_DF16_DF16_fDF16_DF16_NS_16tensor_operation12element_wise11PassThroughES7_S7_LNS5_6device18GemmSpecializationE0ELNS_25InMemoryDataOperationEnumE0ELi2ELi256ELi256ELi256ELi32ELi8ELi4ELi16ELi16ELi8ELi4ENS_8SequenceIJLi4ELi64ELi1EEEENSB_IJLi1ELi0ELi2EEEESD_Li2ELi8ELi8ELb0ELi0ENSB_IJLi8ELi32ELi1EEEENSB_IJLi0ELi2ELi1EEEESF_Li1ELi8ELi4ELb0ELi0ELi1ELi1ENSB_IJLi1ELi32ELi1ELi8EEEELi4ELNS_13LoopSchedulerE0ELNS_15PipelineVersionE0EDF16_DF16_EELb1ELi3EEEvNT_8ArgumentE
	.p2align	8
	.type	_ZN2ck27kernel_gemm_xdl_cshuffle_v2INS_28GridwiseGemm_xdl_cshuffle_v2INS_13tensor_layout4gemm8RowMajorES4_S4_DF16_DF16_fDF16_DF16_NS_16tensor_operation12element_wise11PassThroughES7_S7_LNS5_6device18GemmSpecializationE0ELNS_25InMemoryDataOperationEnumE0ELi2ELi256ELi256ELi256ELi32ELi8ELi4ELi16ELi16ELi8ELi4ENS_8SequenceIJLi4ELi64ELi1EEEENSB_IJLi1ELi0ELi2EEEESD_Li2ELi8ELi8ELb0ELi0ENSB_IJLi8ELi32ELi1EEEENSB_IJLi0ELi2ELi1EEEESF_Li1ELi8ELi4ELb0ELi0ELi1ELi1ENSB_IJLi1ELi32ELi1ELi8EEEELi4ELNS_13LoopSchedulerE0ELNS_15PipelineVersionE0EDF16_DF16_EELb1ELi3EEEvNT_8ArgumentE,@function
_ZN2ck27kernel_gemm_xdl_cshuffle_v2INS_28GridwiseGemm_xdl_cshuffle_v2INS_13tensor_layout4gemm8RowMajorES4_S4_DF16_DF16_fDF16_DF16_NS_16tensor_operation12element_wise11PassThroughES7_S7_LNS5_6device18GemmSpecializationE0ELNS_25InMemoryDataOperationEnumE0ELi2ELi256ELi256ELi256ELi32ELi8ELi4ELi16ELi16ELi8ELi4ENS_8SequenceIJLi4ELi64ELi1EEEENSB_IJLi1ELi0ELi2EEEESD_Li2ELi8ELi8ELb0ELi0ENSB_IJLi8ELi32ELi1EEEENSB_IJLi0ELi2ELi1EEEESF_Li1ELi8ELi4ELb0ELi0ELi1ELi1ENSB_IJLi1ELi32ELi1ELi8EEEELi4ELNS_13LoopSchedulerE0ELNS_15PipelineVersionE0EDF16_DF16_EELb1ELi3EEEvNT_8ArgumentE: ; @_ZN2ck27kernel_gemm_xdl_cshuffle_v2INS_28GridwiseGemm_xdl_cshuffle_v2INS_13tensor_layout4gemm8RowMajorES4_S4_DF16_DF16_fDF16_DF16_NS_16tensor_operation12element_wise11PassThroughES7_S7_LNS5_6device18GemmSpecializationE0ELNS_25InMemoryDataOperationEnumE0ELi2ELi256ELi256ELi256ELi32ELi8ELi4ELi16ELi16ELi8ELi4ENS_8SequenceIJLi4ELi64ELi1EEEENSB_IJLi1ELi0ELi2EEEESD_Li2ELi8ELi8ELb0ELi0ENSB_IJLi8ELi32ELi1EEEENSB_IJLi0ELi2ELi1EEEESF_Li1ELi8ELi4ELb0ELi0ELi1ELi1ENSB_IJLi1ELi32ELi1ELi8EEEELi4ELNS_13LoopSchedulerE0ELNS_15PipelineVersionE0EDF16_DF16_EELb1ELi3EEEvNT_8ArgumentE
; %bb.0:
	s_endpgm
	.section	.rodata,"a",@progbits
	.p2align	6, 0x0
	.amdhsa_kernel _ZN2ck27kernel_gemm_xdl_cshuffle_v2INS_28GridwiseGemm_xdl_cshuffle_v2INS_13tensor_layout4gemm8RowMajorES4_S4_DF16_DF16_fDF16_DF16_NS_16tensor_operation12element_wise11PassThroughES7_S7_LNS5_6device18GemmSpecializationE0ELNS_25InMemoryDataOperationEnumE0ELi2ELi256ELi256ELi256ELi32ELi8ELi4ELi16ELi16ELi8ELi4ENS_8SequenceIJLi4ELi64ELi1EEEENSB_IJLi1ELi0ELi2EEEESD_Li2ELi8ELi8ELb0ELi0ENSB_IJLi8ELi32ELi1EEEENSB_IJLi0ELi2ELi1EEEESF_Li1ELi8ELi4ELb0ELi0ELi1ELi1ENSB_IJLi1ELi32ELi1ELi8EEEELi4ELNS_13LoopSchedulerE0ELNS_15PipelineVersionE0EDF16_DF16_EELb1ELi3EEEvNT_8ArgumentE
		.amdhsa_group_segment_fixed_size 0
		.amdhsa_private_segment_fixed_size 0
		.amdhsa_kernarg_size 96
		.amdhsa_user_sgpr_count 2
		.amdhsa_user_sgpr_dispatch_ptr 0
		.amdhsa_user_sgpr_queue_ptr 0
		.amdhsa_user_sgpr_kernarg_segment_ptr 1
		.amdhsa_user_sgpr_dispatch_id 0
		.amdhsa_user_sgpr_kernarg_preload_length 0
		.amdhsa_user_sgpr_kernarg_preload_offset 0
		.amdhsa_user_sgpr_private_segment_size 0
		.amdhsa_uses_dynamic_stack 0
		.amdhsa_enable_private_segment 0
		.amdhsa_system_sgpr_workgroup_id_x 1
		.amdhsa_system_sgpr_workgroup_id_y 0
		.amdhsa_system_sgpr_workgroup_id_z 0
		.amdhsa_system_sgpr_workgroup_info 0
		.amdhsa_system_vgpr_workitem_id 0
		.amdhsa_next_free_vgpr 1
		.amdhsa_next_free_sgpr 0
		.amdhsa_accum_offset 4
		.amdhsa_reserve_vcc 0
		.amdhsa_float_round_mode_32 0
		.amdhsa_float_round_mode_16_64 0
		.amdhsa_float_denorm_mode_32 3
		.amdhsa_float_denorm_mode_16_64 3
		.amdhsa_dx10_clamp 1
		.amdhsa_ieee_mode 1
		.amdhsa_fp16_overflow 0
		.amdhsa_tg_split 0
		.amdhsa_exception_fp_ieee_invalid_op 0
		.amdhsa_exception_fp_denorm_src 0
		.amdhsa_exception_fp_ieee_div_zero 0
		.amdhsa_exception_fp_ieee_overflow 0
		.amdhsa_exception_fp_ieee_underflow 0
		.amdhsa_exception_fp_ieee_inexact 0
		.amdhsa_exception_int_div_zero 0
	.end_amdhsa_kernel
	.section	.text._ZN2ck27kernel_gemm_xdl_cshuffle_v2INS_28GridwiseGemm_xdl_cshuffle_v2INS_13tensor_layout4gemm8RowMajorES4_S4_DF16_DF16_fDF16_DF16_NS_16tensor_operation12element_wise11PassThroughES7_S7_LNS5_6device18GemmSpecializationE0ELNS_25InMemoryDataOperationEnumE0ELi2ELi256ELi256ELi256ELi32ELi8ELi4ELi16ELi16ELi8ELi4ENS_8SequenceIJLi4ELi64ELi1EEEENSB_IJLi1ELi0ELi2EEEESD_Li2ELi8ELi8ELb0ELi0ENSB_IJLi8ELi32ELi1EEEENSB_IJLi0ELi2ELi1EEEESF_Li1ELi8ELi4ELb0ELi0ELi1ELi1ENSB_IJLi1ELi32ELi1ELi8EEEELi4ELNS_13LoopSchedulerE0ELNS_15PipelineVersionE0EDF16_DF16_EELb1ELi3EEEvNT_8ArgumentE,"axG",@progbits,_ZN2ck27kernel_gemm_xdl_cshuffle_v2INS_28GridwiseGemm_xdl_cshuffle_v2INS_13tensor_layout4gemm8RowMajorES4_S4_DF16_DF16_fDF16_DF16_NS_16tensor_operation12element_wise11PassThroughES7_S7_LNS5_6device18GemmSpecializationE0ELNS_25InMemoryDataOperationEnumE0ELi2ELi256ELi256ELi256ELi32ELi8ELi4ELi16ELi16ELi8ELi4ENS_8SequenceIJLi4ELi64ELi1EEEENSB_IJLi1ELi0ELi2EEEESD_Li2ELi8ELi8ELb0ELi0ENSB_IJLi8ELi32ELi1EEEENSB_IJLi0ELi2ELi1EEEESF_Li1ELi8ELi4ELb0ELi0ELi1ELi1ENSB_IJLi1ELi32ELi1ELi8EEEELi4ELNS_13LoopSchedulerE0ELNS_15PipelineVersionE0EDF16_DF16_EELb1ELi3EEEvNT_8ArgumentE,comdat
.Lfunc_end3:
	.size	_ZN2ck27kernel_gemm_xdl_cshuffle_v2INS_28GridwiseGemm_xdl_cshuffle_v2INS_13tensor_layout4gemm8RowMajorES4_S4_DF16_DF16_fDF16_DF16_NS_16tensor_operation12element_wise11PassThroughES7_S7_LNS5_6device18GemmSpecializationE0ELNS_25InMemoryDataOperationEnumE0ELi2ELi256ELi256ELi256ELi32ELi8ELi4ELi16ELi16ELi8ELi4ENS_8SequenceIJLi4ELi64ELi1EEEENSB_IJLi1ELi0ELi2EEEESD_Li2ELi8ELi8ELb0ELi0ENSB_IJLi8ELi32ELi1EEEENSB_IJLi0ELi2ELi1EEEESF_Li1ELi8ELi4ELb0ELi0ELi1ELi1ENSB_IJLi1ELi32ELi1ELi8EEEELi4ELNS_13LoopSchedulerE0ELNS_15PipelineVersionE0EDF16_DF16_EELb1ELi3EEEvNT_8ArgumentE, .Lfunc_end3-_ZN2ck27kernel_gemm_xdl_cshuffle_v2INS_28GridwiseGemm_xdl_cshuffle_v2INS_13tensor_layout4gemm8RowMajorES4_S4_DF16_DF16_fDF16_DF16_NS_16tensor_operation12element_wise11PassThroughES7_S7_LNS5_6device18GemmSpecializationE0ELNS_25InMemoryDataOperationEnumE0ELi2ELi256ELi256ELi256ELi32ELi8ELi4ELi16ELi16ELi8ELi4ENS_8SequenceIJLi4ELi64ELi1EEEENSB_IJLi1ELi0ELi2EEEESD_Li2ELi8ELi8ELb0ELi0ENSB_IJLi8ELi32ELi1EEEENSB_IJLi0ELi2ELi1EEEESF_Li1ELi8ELi4ELb0ELi0ELi1ELi1ENSB_IJLi1ELi32ELi1ELi8EEEELi4ELNS_13LoopSchedulerE0ELNS_15PipelineVersionE0EDF16_DF16_EELb1ELi3EEEvNT_8ArgumentE
                                        ; -- End function
	.set _ZN2ck27kernel_gemm_xdl_cshuffle_v2INS_28GridwiseGemm_xdl_cshuffle_v2INS_13tensor_layout4gemm8RowMajorES4_S4_DF16_DF16_fDF16_DF16_NS_16tensor_operation12element_wise11PassThroughES7_S7_LNS5_6device18GemmSpecializationE0ELNS_25InMemoryDataOperationEnumE0ELi2ELi256ELi256ELi256ELi32ELi8ELi4ELi16ELi16ELi8ELi4ENS_8SequenceIJLi4ELi64ELi1EEEENSB_IJLi1ELi0ELi2EEEESD_Li2ELi8ELi8ELb0ELi0ENSB_IJLi8ELi32ELi1EEEENSB_IJLi0ELi2ELi1EEEESF_Li1ELi8ELi4ELb0ELi0ELi1ELi1ENSB_IJLi1ELi32ELi1ELi8EEEELi4ELNS_13LoopSchedulerE0ELNS_15PipelineVersionE0EDF16_DF16_EELb1ELi3EEEvNT_8ArgumentE.num_vgpr, 0
	.set _ZN2ck27kernel_gemm_xdl_cshuffle_v2INS_28GridwiseGemm_xdl_cshuffle_v2INS_13tensor_layout4gemm8RowMajorES4_S4_DF16_DF16_fDF16_DF16_NS_16tensor_operation12element_wise11PassThroughES7_S7_LNS5_6device18GemmSpecializationE0ELNS_25InMemoryDataOperationEnumE0ELi2ELi256ELi256ELi256ELi32ELi8ELi4ELi16ELi16ELi8ELi4ENS_8SequenceIJLi4ELi64ELi1EEEENSB_IJLi1ELi0ELi2EEEESD_Li2ELi8ELi8ELb0ELi0ENSB_IJLi8ELi32ELi1EEEENSB_IJLi0ELi2ELi1EEEESF_Li1ELi8ELi4ELb0ELi0ELi1ELi1ENSB_IJLi1ELi32ELi1ELi8EEEELi4ELNS_13LoopSchedulerE0ELNS_15PipelineVersionE0EDF16_DF16_EELb1ELi3EEEvNT_8ArgumentE.num_agpr, 0
	.set _ZN2ck27kernel_gemm_xdl_cshuffle_v2INS_28GridwiseGemm_xdl_cshuffle_v2INS_13tensor_layout4gemm8RowMajorES4_S4_DF16_DF16_fDF16_DF16_NS_16tensor_operation12element_wise11PassThroughES7_S7_LNS5_6device18GemmSpecializationE0ELNS_25InMemoryDataOperationEnumE0ELi2ELi256ELi256ELi256ELi32ELi8ELi4ELi16ELi16ELi8ELi4ENS_8SequenceIJLi4ELi64ELi1EEEENSB_IJLi1ELi0ELi2EEEESD_Li2ELi8ELi8ELb0ELi0ENSB_IJLi8ELi32ELi1EEEENSB_IJLi0ELi2ELi1EEEESF_Li1ELi8ELi4ELb0ELi0ELi1ELi1ENSB_IJLi1ELi32ELi1ELi8EEEELi4ELNS_13LoopSchedulerE0ELNS_15PipelineVersionE0EDF16_DF16_EELb1ELi3EEEvNT_8ArgumentE.numbered_sgpr, 0
	.set _ZN2ck27kernel_gemm_xdl_cshuffle_v2INS_28GridwiseGemm_xdl_cshuffle_v2INS_13tensor_layout4gemm8RowMajorES4_S4_DF16_DF16_fDF16_DF16_NS_16tensor_operation12element_wise11PassThroughES7_S7_LNS5_6device18GemmSpecializationE0ELNS_25InMemoryDataOperationEnumE0ELi2ELi256ELi256ELi256ELi32ELi8ELi4ELi16ELi16ELi8ELi4ENS_8SequenceIJLi4ELi64ELi1EEEENSB_IJLi1ELi0ELi2EEEESD_Li2ELi8ELi8ELb0ELi0ENSB_IJLi8ELi32ELi1EEEENSB_IJLi0ELi2ELi1EEEESF_Li1ELi8ELi4ELb0ELi0ELi1ELi1ENSB_IJLi1ELi32ELi1ELi8EEEELi4ELNS_13LoopSchedulerE0ELNS_15PipelineVersionE0EDF16_DF16_EELb1ELi3EEEvNT_8ArgumentE.num_named_barrier, 0
	.set _ZN2ck27kernel_gemm_xdl_cshuffle_v2INS_28GridwiseGemm_xdl_cshuffle_v2INS_13tensor_layout4gemm8RowMajorES4_S4_DF16_DF16_fDF16_DF16_NS_16tensor_operation12element_wise11PassThroughES7_S7_LNS5_6device18GemmSpecializationE0ELNS_25InMemoryDataOperationEnumE0ELi2ELi256ELi256ELi256ELi32ELi8ELi4ELi16ELi16ELi8ELi4ENS_8SequenceIJLi4ELi64ELi1EEEENSB_IJLi1ELi0ELi2EEEESD_Li2ELi8ELi8ELb0ELi0ENSB_IJLi8ELi32ELi1EEEENSB_IJLi0ELi2ELi1EEEESF_Li1ELi8ELi4ELb0ELi0ELi1ELi1ENSB_IJLi1ELi32ELi1ELi8EEEELi4ELNS_13LoopSchedulerE0ELNS_15PipelineVersionE0EDF16_DF16_EELb1ELi3EEEvNT_8ArgumentE.private_seg_size, 0
	.set _ZN2ck27kernel_gemm_xdl_cshuffle_v2INS_28GridwiseGemm_xdl_cshuffle_v2INS_13tensor_layout4gemm8RowMajorES4_S4_DF16_DF16_fDF16_DF16_NS_16tensor_operation12element_wise11PassThroughES7_S7_LNS5_6device18GemmSpecializationE0ELNS_25InMemoryDataOperationEnumE0ELi2ELi256ELi256ELi256ELi32ELi8ELi4ELi16ELi16ELi8ELi4ENS_8SequenceIJLi4ELi64ELi1EEEENSB_IJLi1ELi0ELi2EEEESD_Li2ELi8ELi8ELb0ELi0ENSB_IJLi8ELi32ELi1EEEENSB_IJLi0ELi2ELi1EEEESF_Li1ELi8ELi4ELb0ELi0ELi1ELi1ENSB_IJLi1ELi32ELi1ELi8EEEELi4ELNS_13LoopSchedulerE0ELNS_15PipelineVersionE0EDF16_DF16_EELb1ELi3EEEvNT_8ArgumentE.uses_vcc, 0
	.set _ZN2ck27kernel_gemm_xdl_cshuffle_v2INS_28GridwiseGemm_xdl_cshuffle_v2INS_13tensor_layout4gemm8RowMajorES4_S4_DF16_DF16_fDF16_DF16_NS_16tensor_operation12element_wise11PassThroughES7_S7_LNS5_6device18GemmSpecializationE0ELNS_25InMemoryDataOperationEnumE0ELi2ELi256ELi256ELi256ELi32ELi8ELi4ELi16ELi16ELi8ELi4ENS_8SequenceIJLi4ELi64ELi1EEEENSB_IJLi1ELi0ELi2EEEESD_Li2ELi8ELi8ELb0ELi0ENSB_IJLi8ELi32ELi1EEEENSB_IJLi0ELi2ELi1EEEESF_Li1ELi8ELi4ELb0ELi0ELi1ELi1ENSB_IJLi1ELi32ELi1ELi8EEEELi4ELNS_13LoopSchedulerE0ELNS_15PipelineVersionE0EDF16_DF16_EELb1ELi3EEEvNT_8ArgumentE.uses_flat_scratch, 0
	.set _ZN2ck27kernel_gemm_xdl_cshuffle_v2INS_28GridwiseGemm_xdl_cshuffle_v2INS_13tensor_layout4gemm8RowMajorES4_S4_DF16_DF16_fDF16_DF16_NS_16tensor_operation12element_wise11PassThroughES7_S7_LNS5_6device18GemmSpecializationE0ELNS_25InMemoryDataOperationEnumE0ELi2ELi256ELi256ELi256ELi32ELi8ELi4ELi16ELi16ELi8ELi4ENS_8SequenceIJLi4ELi64ELi1EEEENSB_IJLi1ELi0ELi2EEEESD_Li2ELi8ELi8ELb0ELi0ENSB_IJLi8ELi32ELi1EEEENSB_IJLi0ELi2ELi1EEEESF_Li1ELi8ELi4ELb0ELi0ELi1ELi1ENSB_IJLi1ELi32ELi1ELi8EEEELi4ELNS_13LoopSchedulerE0ELNS_15PipelineVersionE0EDF16_DF16_EELb1ELi3EEEvNT_8ArgumentE.has_dyn_sized_stack, 0
	.set _ZN2ck27kernel_gemm_xdl_cshuffle_v2INS_28GridwiseGemm_xdl_cshuffle_v2INS_13tensor_layout4gemm8RowMajorES4_S4_DF16_DF16_fDF16_DF16_NS_16tensor_operation12element_wise11PassThroughES7_S7_LNS5_6device18GemmSpecializationE0ELNS_25InMemoryDataOperationEnumE0ELi2ELi256ELi256ELi256ELi32ELi8ELi4ELi16ELi16ELi8ELi4ENS_8SequenceIJLi4ELi64ELi1EEEENSB_IJLi1ELi0ELi2EEEESD_Li2ELi8ELi8ELb0ELi0ENSB_IJLi8ELi32ELi1EEEENSB_IJLi0ELi2ELi1EEEESF_Li1ELi8ELi4ELb0ELi0ELi1ELi1ENSB_IJLi1ELi32ELi1ELi8EEEELi4ELNS_13LoopSchedulerE0ELNS_15PipelineVersionE0EDF16_DF16_EELb1ELi3EEEvNT_8ArgumentE.has_recursion, 0
	.set _ZN2ck27kernel_gemm_xdl_cshuffle_v2INS_28GridwiseGemm_xdl_cshuffle_v2INS_13tensor_layout4gemm8RowMajorES4_S4_DF16_DF16_fDF16_DF16_NS_16tensor_operation12element_wise11PassThroughES7_S7_LNS5_6device18GemmSpecializationE0ELNS_25InMemoryDataOperationEnumE0ELi2ELi256ELi256ELi256ELi32ELi8ELi4ELi16ELi16ELi8ELi4ENS_8SequenceIJLi4ELi64ELi1EEEENSB_IJLi1ELi0ELi2EEEESD_Li2ELi8ELi8ELb0ELi0ENSB_IJLi8ELi32ELi1EEEENSB_IJLi0ELi2ELi1EEEESF_Li1ELi8ELi4ELb0ELi0ELi1ELi1ENSB_IJLi1ELi32ELi1ELi8EEEELi4ELNS_13LoopSchedulerE0ELNS_15PipelineVersionE0EDF16_DF16_EELb1ELi3EEEvNT_8ArgumentE.has_indirect_call, 0
	.section	.AMDGPU.csdata,"",@progbits
; Kernel info:
; codeLenInByte = 4
; TotalNumSgprs: 6
; NumVgprs: 0
; NumAgprs: 0
; TotalNumVgprs: 0
; ScratchSize: 0
; MemoryBound: 0
; FloatMode: 240
; IeeeMode: 1
; LDSByteSize: 0 bytes/workgroup (compile time only)
; SGPRBlocks: 0
; VGPRBlocks: 0
; NumSGPRsForWavesPerEU: 6
; NumVGPRsForWavesPerEU: 1
; AccumOffset: 4
; Occupancy: 8
; WaveLimiterHint : 0
; COMPUTE_PGM_RSRC2:SCRATCH_EN: 0
; COMPUTE_PGM_RSRC2:USER_SGPR: 2
; COMPUTE_PGM_RSRC2:TRAP_HANDLER: 0
; COMPUTE_PGM_RSRC2:TGID_X_EN: 1
; COMPUTE_PGM_RSRC2:TGID_Y_EN: 0
; COMPUTE_PGM_RSRC2:TGID_Z_EN: 0
; COMPUTE_PGM_RSRC2:TIDIG_COMP_CNT: 0
; COMPUTE_PGM_RSRC3_GFX90A:ACCUM_OFFSET: 0
; COMPUTE_PGM_RSRC3_GFX90A:TG_SPLIT: 0
	.section	.text._ZN2ck27kernel_gemm_xdl_cshuffle_v2INS_28GridwiseGemm_xdl_cshuffle_v2INS_13tensor_layout4gemm8RowMajorES4_S4_DF16_DF16_fDF16_DF16_NS_16tensor_operation12element_wise11PassThroughES7_S7_LNS5_6device18GemmSpecializationE0ELNS_25InMemoryDataOperationEnumE0ELi2ELi256ELi256ELi256ELi32ELi8ELi4ELi16ELi16ELi8ELi4ENS_8SequenceIJLi4ELi64ELi1EEEENSB_IJLi1ELi0ELi2EEEESD_Li2ELi8ELi8ELb0ELi0ENSB_IJLi8ELi32ELi1EEEENSB_IJLi0ELi2ELi1EEEESF_Li1ELi8ELi4ELb0ELi0ELi1ELi1ENSB_IJLi1ELi32ELi1ELi8EEEELi4ELNS_13LoopSchedulerE0ELNS_15PipelineVersionE0EDF16_DF16_EELb1ELi2EEEvNT_8ArgumentE,"axG",@progbits,_ZN2ck27kernel_gemm_xdl_cshuffle_v2INS_28GridwiseGemm_xdl_cshuffle_v2INS_13tensor_layout4gemm8RowMajorES4_S4_DF16_DF16_fDF16_DF16_NS_16tensor_operation12element_wise11PassThroughES7_S7_LNS5_6device18GemmSpecializationE0ELNS_25InMemoryDataOperationEnumE0ELi2ELi256ELi256ELi256ELi32ELi8ELi4ELi16ELi16ELi8ELi4ENS_8SequenceIJLi4ELi64ELi1EEEENSB_IJLi1ELi0ELi2EEEESD_Li2ELi8ELi8ELb0ELi0ENSB_IJLi8ELi32ELi1EEEENSB_IJLi0ELi2ELi1EEEESF_Li1ELi8ELi4ELb0ELi0ELi1ELi1ENSB_IJLi1ELi32ELi1ELi8EEEELi4ELNS_13LoopSchedulerE0ELNS_15PipelineVersionE0EDF16_DF16_EELb1ELi2EEEvNT_8ArgumentE,comdat
	.protected	_ZN2ck27kernel_gemm_xdl_cshuffle_v2INS_28GridwiseGemm_xdl_cshuffle_v2INS_13tensor_layout4gemm8RowMajorES4_S4_DF16_DF16_fDF16_DF16_NS_16tensor_operation12element_wise11PassThroughES7_S7_LNS5_6device18GemmSpecializationE0ELNS_25InMemoryDataOperationEnumE0ELi2ELi256ELi256ELi256ELi32ELi8ELi4ELi16ELi16ELi8ELi4ENS_8SequenceIJLi4ELi64ELi1EEEENSB_IJLi1ELi0ELi2EEEESD_Li2ELi8ELi8ELb0ELi0ENSB_IJLi8ELi32ELi1EEEENSB_IJLi0ELi2ELi1EEEESF_Li1ELi8ELi4ELb0ELi0ELi1ELi1ENSB_IJLi1ELi32ELi1ELi8EEEELi4ELNS_13LoopSchedulerE0ELNS_15PipelineVersionE0EDF16_DF16_EELb1ELi2EEEvNT_8ArgumentE ; -- Begin function _ZN2ck27kernel_gemm_xdl_cshuffle_v2INS_28GridwiseGemm_xdl_cshuffle_v2INS_13tensor_layout4gemm8RowMajorES4_S4_DF16_DF16_fDF16_DF16_NS_16tensor_operation12element_wise11PassThroughES7_S7_LNS5_6device18GemmSpecializationE0ELNS_25InMemoryDataOperationEnumE0ELi2ELi256ELi256ELi256ELi32ELi8ELi4ELi16ELi16ELi8ELi4ENS_8SequenceIJLi4ELi64ELi1EEEENSB_IJLi1ELi0ELi2EEEESD_Li2ELi8ELi8ELb0ELi0ENSB_IJLi8ELi32ELi1EEEENSB_IJLi0ELi2ELi1EEEESF_Li1ELi8ELi4ELb0ELi0ELi1ELi1ENSB_IJLi1ELi32ELi1ELi8EEEELi4ELNS_13LoopSchedulerE0ELNS_15PipelineVersionE0EDF16_DF16_EELb1ELi2EEEvNT_8ArgumentE
	.globl	_ZN2ck27kernel_gemm_xdl_cshuffle_v2INS_28GridwiseGemm_xdl_cshuffle_v2INS_13tensor_layout4gemm8RowMajorES4_S4_DF16_DF16_fDF16_DF16_NS_16tensor_operation12element_wise11PassThroughES7_S7_LNS5_6device18GemmSpecializationE0ELNS_25InMemoryDataOperationEnumE0ELi2ELi256ELi256ELi256ELi32ELi8ELi4ELi16ELi16ELi8ELi4ENS_8SequenceIJLi4ELi64ELi1EEEENSB_IJLi1ELi0ELi2EEEESD_Li2ELi8ELi8ELb0ELi0ENSB_IJLi8ELi32ELi1EEEENSB_IJLi0ELi2ELi1EEEESF_Li1ELi8ELi4ELb0ELi0ELi1ELi1ENSB_IJLi1ELi32ELi1ELi8EEEELi4ELNS_13LoopSchedulerE0ELNS_15PipelineVersionE0EDF16_DF16_EELb1ELi2EEEvNT_8ArgumentE
	.p2align	8
	.type	_ZN2ck27kernel_gemm_xdl_cshuffle_v2INS_28GridwiseGemm_xdl_cshuffle_v2INS_13tensor_layout4gemm8RowMajorES4_S4_DF16_DF16_fDF16_DF16_NS_16tensor_operation12element_wise11PassThroughES7_S7_LNS5_6device18GemmSpecializationE0ELNS_25InMemoryDataOperationEnumE0ELi2ELi256ELi256ELi256ELi32ELi8ELi4ELi16ELi16ELi8ELi4ENS_8SequenceIJLi4ELi64ELi1EEEENSB_IJLi1ELi0ELi2EEEESD_Li2ELi8ELi8ELb0ELi0ENSB_IJLi8ELi32ELi1EEEENSB_IJLi0ELi2ELi1EEEESF_Li1ELi8ELi4ELb0ELi0ELi1ELi1ENSB_IJLi1ELi32ELi1ELi8EEEELi4ELNS_13LoopSchedulerE0ELNS_15PipelineVersionE0EDF16_DF16_EELb1ELi2EEEvNT_8ArgumentE,@function
_ZN2ck27kernel_gemm_xdl_cshuffle_v2INS_28GridwiseGemm_xdl_cshuffle_v2INS_13tensor_layout4gemm8RowMajorES4_S4_DF16_DF16_fDF16_DF16_NS_16tensor_operation12element_wise11PassThroughES7_S7_LNS5_6device18GemmSpecializationE0ELNS_25InMemoryDataOperationEnumE0ELi2ELi256ELi256ELi256ELi32ELi8ELi4ELi16ELi16ELi8ELi4ENS_8SequenceIJLi4ELi64ELi1EEEENSB_IJLi1ELi0ELi2EEEESD_Li2ELi8ELi8ELb0ELi0ENSB_IJLi8ELi32ELi1EEEENSB_IJLi0ELi2ELi1EEEESF_Li1ELi8ELi4ELb0ELi0ELi1ELi1ENSB_IJLi1ELi32ELi1ELi8EEEELi4ELNS_13LoopSchedulerE0ELNS_15PipelineVersionE0EDF16_DF16_EELb1ELi2EEEvNT_8ArgumentE: ; @_ZN2ck27kernel_gemm_xdl_cshuffle_v2INS_28GridwiseGemm_xdl_cshuffle_v2INS_13tensor_layout4gemm8RowMajorES4_S4_DF16_DF16_fDF16_DF16_NS_16tensor_operation12element_wise11PassThroughES7_S7_LNS5_6device18GemmSpecializationE0ELNS_25InMemoryDataOperationEnumE0ELi2ELi256ELi256ELi256ELi32ELi8ELi4ELi16ELi16ELi8ELi4ENS_8SequenceIJLi4ELi64ELi1EEEENSB_IJLi1ELi0ELi2EEEESD_Li2ELi8ELi8ELb0ELi0ENSB_IJLi8ELi32ELi1EEEENSB_IJLi0ELi2ELi1EEEESF_Li1ELi8ELi4ELb0ELi0ELi1ELi1ENSB_IJLi1ELi32ELi1ELi8EEEELi4ELNS_13LoopSchedulerE0ELNS_15PipelineVersionE0EDF16_DF16_EELb1ELi2EEEvNT_8ArgumentE
; %bb.0:
	s_endpgm
	.section	.rodata,"a",@progbits
	.p2align	6, 0x0
	.amdhsa_kernel _ZN2ck27kernel_gemm_xdl_cshuffle_v2INS_28GridwiseGemm_xdl_cshuffle_v2INS_13tensor_layout4gemm8RowMajorES4_S4_DF16_DF16_fDF16_DF16_NS_16tensor_operation12element_wise11PassThroughES7_S7_LNS5_6device18GemmSpecializationE0ELNS_25InMemoryDataOperationEnumE0ELi2ELi256ELi256ELi256ELi32ELi8ELi4ELi16ELi16ELi8ELi4ENS_8SequenceIJLi4ELi64ELi1EEEENSB_IJLi1ELi0ELi2EEEESD_Li2ELi8ELi8ELb0ELi0ENSB_IJLi8ELi32ELi1EEEENSB_IJLi0ELi2ELi1EEEESF_Li1ELi8ELi4ELb0ELi0ELi1ELi1ENSB_IJLi1ELi32ELi1ELi8EEEELi4ELNS_13LoopSchedulerE0ELNS_15PipelineVersionE0EDF16_DF16_EELb1ELi2EEEvNT_8ArgumentE
		.amdhsa_group_segment_fixed_size 0
		.amdhsa_private_segment_fixed_size 0
		.amdhsa_kernarg_size 96
		.amdhsa_user_sgpr_count 2
		.amdhsa_user_sgpr_dispatch_ptr 0
		.amdhsa_user_sgpr_queue_ptr 0
		.amdhsa_user_sgpr_kernarg_segment_ptr 1
		.amdhsa_user_sgpr_dispatch_id 0
		.amdhsa_user_sgpr_kernarg_preload_length 0
		.amdhsa_user_sgpr_kernarg_preload_offset 0
		.amdhsa_user_sgpr_private_segment_size 0
		.amdhsa_uses_dynamic_stack 0
		.amdhsa_enable_private_segment 0
		.amdhsa_system_sgpr_workgroup_id_x 1
		.amdhsa_system_sgpr_workgroup_id_y 0
		.amdhsa_system_sgpr_workgroup_id_z 0
		.amdhsa_system_sgpr_workgroup_info 0
		.amdhsa_system_vgpr_workitem_id 0
		.amdhsa_next_free_vgpr 1
		.amdhsa_next_free_sgpr 0
		.amdhsa_accum_offset 4
		.amdhsa_reserve_vcc 0
		.amdhsa_float_round_mode_32 0
		.amdhsa_float_round_mode_16_64 0
		.amdhsa_float_denorm_mode_32 3
		.amdhsa_float_denorm_mode_16_64 3
		.amdhsa_dx10_clamp 1
		.amdhsa_ieee_mode 1
		.amdhsa_fp16_overflow 0
		.amdhsa_tg_split 0
		.amdhsa_exception_fp_ieee_invalid_op 0
		.amdhsa_exception_fp_denorm_src 0
		.amdhsa_exception_fp_ieee_div_zero 0
		.amdhsa_exception_fp_ieee_overflow 0
		.amdhsa_exception_fp_ieee_underflow 0
		.amdhsa_exception_fp_ieee_inexact 0
		.amdhsa_exception_int_div_zero 0
	.end_amdhsa_kernel
	.section	.text._ZN2ck27kernel_gemm_xdl_cshuffle_v2INS_28GridwiseGemm_xdl_cshuffle_v2INS_13tensor_layout4gemm8RowMajorES4_S4_DF16_DF16_fDF16_DF16_NS_16tensor_operation12element_wise11PassThroughES7_S7_LNS5_6device18GemmSpecializationE0ELNS_25InMemoryDataOperationEnumE0ELi2ELi256ELi256ELi256ELi32ELi8ELi4ELi16ELi16ELi8ELi4ENS_8SequenceIJLi4ELi64ELi1EEEENSB_IJLi1ELi0ELi2EEEESD_Li2ELi8ELi8ELb0ELi0ENSB_IJLi8ELi32ELi1EEEENSB_IJLi0ELi2ELi1EEEESF_Li1ELi8ELi4ELb0ELi0ELi1ELi1ENSB_IJLi1ELi32ELi1ELi8EEEELi4ELNS_13LoopSchedulerE0ELNS_15PipelineVersionE0EDF16_DF16_EELb1ELi2EEEvNT_8ArgumentE,"axG",@progbits,_ZN2ck27kernel_gemm_xdl_cshuffle_v2INS_28GridwiseGemm_xdl_cshuffle_v2INS_13tensor_layout4gemm8RowMajorES4_S4_DF16_DF16_fDF16_DF16_NS_16tensor_operation12element_wise11PassThroughES7_S7_LNS5_6device18GemmSpecializationE0ELNS_25InMemoryDataOperationEnumE0ELi2ELi256ELi256ELi256ELi32ELi8ELi4ELi16ELi16ELi8ELi4ENS_8SequenceIJLi4ELi64ELi1EEEENSB_IJLi1ELi0ELi2EEEESD_Li2ELi8ELi8ELb0ELi0ENSB_IJLi8ELi32ELi1EEEENSB_IJLi0ELi2ELi1EEEESF_Li1ELi8ELi4ELb0ELi0ELi1ELi1ENSB_IJLi1ELi32ELi1ELi8EEEELi4ELNS_13LoopSchedulerE0ELNS_15PipelineVersionE0EDF16_DF16_EELb1ELi2EEEvNT_8ArgumentE,comdat
.Lfunc_end4:
	.size	_ZN2ck27kernel_gemm_xdl_cshuffle_v2INS_28GridwiseGemm_xdl_cshuffle_v2INS_13tensor_layout4gemm8RowMajorES4_S4_DF16_DF16_fDF16_DF16_NS_16tensor_operation12element_wise11PassThroughES7_S7_LNS5_6device18GemmSpecializationE0ELNS_25InMemoryDataOperationEnumE0ELi2ELi256ELi256ELi256ELi32ELi8ELi4ELi16ELi16ELi8ELi4ENS_8SequenceIJLi4ELi64ELi1EEEENSB_IJLi1ELi0ELi2EEEESD_Li2ELi8ELi8ELb0ELi0ENSB_IJLi8ELi32ELi1EEEENSB_IJLi0ELi2ELi1EEEESF_Li1ELi8ELi4ELb0ELi0ELi1ELi1ENSB_IJLi1ELi32ELi1ELi8EEEELi4ELNS_13LoopSchedulerE0ELNS_15PipelineVersionE0EDF16_DF16_EELb1ELi2EEEvNT_8ArgumentE, .Lfunc_end4-_ZN2ck27kernel_gemm_xdl_cshuffle_v2INS_28GridwiseGemm_xdl_cshuffle_v2INS_13tensor_layout4gemm8RowMajorES4_S4_DF16_DF16_fDF16_DF16_NS_16tensor_operation12element_wise11PassThroughES7_S7_LNS5_6device18GemmSpecializationE0ELNS_25InMemoryDataOperationEnumE0ELi2ELi256ELi256ELi256ELi32ELi8ELi4ELi16ELi16ELi8ELi4ENS_8SequenceIJLi4ELi64ELi1EEEENSB_IJLi1ELi0ELi2EEEESD_Li2ELi8ELi8ELb0ELi0ENSB_IJLi8ELi32ELi1EEEENSB_IJLi0ELi2ELi1EEEESF_Li1ELi8ELi4ELb0ELi0ELi1ELi1ENSB_IJLi1ELi32ELi1ELi8EEEELi4ELNS_13LoopSchedulerE0ELNS_15PipelineVersionE0EDF16_DF16_EELb1ELi2EEEvNT_8ArgumentE
                                        ; -- End function
	.set _ZN2ck27kernel_gemm_xdl_cshuffle_v2INS_28GridwiseGemm_xdl_cshuffle_v2INS_13tensor_layout4gemm8RowMajorES4_S4_DF16_DF16_fDF16_DF16_NS_16tensor_operation12element_wise11PassThroughES7_S7_LNS5_6device18GemmSpecializationE0ELNS_25InMemoryDataOperationEnumE0ELi2ELi256ELi256ELi256ELi32ELi8ELi4ELi16ELi16ELi8ELi4ENS_8SequenceIJLi4ELi64ELi1EEEENSB_IJLi1ELi0ELi2EEEESD_Li2ELi8ELi8ELb0ELi0ENSB_IJLi8ELi32ELi1EEEENSB_IJLi0ELi2ELi1EEEESF_Li1ELi8ELi4ELb0ELi0ELi1ELi1ENSB_IJLi1ELi32ELi1ELi8EEEELi4ELNS_13LoopSchedulerE0ELNS_15PipelineVersionE0EDF16_DF16_EELb1ELi2EEEvNT_8ArgumentE.num_vgpr, 0
	.set _ZN2ck27kernel_gemm_xdl_cshuffle_v2INS_28GridwiseGemm_xdl_cshuffle_v2INS_13tensor_layout4gemm8RowMajorES4_S4_DF16_DF16_fDF16_DF16_NS_16tensor_operation12element_wise11PassThroughES7_S7_LNS5_6device18GemmSpecializationE0ELNS_25InMemoryDataOperationEnumE0ELi2ELi256ELi256ELi256ELi32ELi8ELi4ELi16ELi16ELi8ELi4ENS_8SequenceIJLi4ELi64ELi1EEEENSB_IJLi1ELi0ELi2EEEESD_Li2ELi8ELi8ELb0ELi0ENSB_IJLi8ELi32ELi1EEEENSB_IJLi0ELi2ELi1EEEESF_Li1ELi8ELi4ELb0ELi0ELi1ELi1ENSB_IJLi1ELi32ELi1ELi8EEEELi4ELNS_13LoopSchedulerE0ELNS_15PipelineVersionE0EDF16_DF16_EELb1ELi2EEEvNT_8ArgumentE.num_agpr, 0
	.set _ZN2ck27kernel_gemm_xdl_cshuffle_v2INS_28GridwiseGemm_xdl_cshuffle_v2INS_13tensor_layout4gemm8RowMajorES4_S4_DF16_DF16_fDF16_DF16_NS_16tensor_operation12element_wise11PassThroughES7_S7_LNS5_6device18GemmSpecializationE0ELNS_25InMemoryDataOperationEnumE0ELi2ELi256ELi256ELi256ELi32ELi8ELi4ELi16ELi16ELi8ELi4ENS_8SequenceIJLi4ELi64ELi1EEEENSB_IJLi1ELi0ELi2EEEESD_Li2ELi8ELi8ELb0ELi0ENSB_IJLi8ELi32ELi1EEEENSB_IJLi0ELi2ELi1EEEESF_Li1ELi8ELi4ELb0ELi0ELi1ELi1ENSB_IJLi1ELi32ELi1ELi8EEEELi4ELNS_13LoopSchedulerE0ELNS_15PipelineVersionE0EDF16_DF16_EELb1ELi2EEEvNT_8ArgumentE.numbered_sgpr, 0
	.set _ZN2ck27kernel_gemm_xdl_cshuffle_v2INS_28GridwiseGemm_xdl_cshuffle_v2INS_13tensor_layout4gemm8RowMajorES4_S4_DF16_DF16_fDF16_DF16_NS_16tensor_operation12element_wise11PassThroughES7_S7_LNS5_6device18GemmSpecializationE0ELNS_25InMemoryDataOperationEnumE0ELi2ELi256ELi256ELi256ELi32ELi8ELi4ELi16ELi16ELi8ELi4ENS_8SequenceIJLi4ELi64ELi1EEEENSB_IJLi1ELi0ELi2EEEESD_Li2ELi8ELi8ELb0ELi0ENSB_IJLi8ELi32ELi1EEEENSB_IJLi0ELi2ELi1EEEESF_Li1ELi8ELi4ELb0ELi0ELi1ELi1ENSB_IJLi1ELi32ELi1ELi8EEEELi4ELNS_13LoopSchedulerE0ELNS_15PipelineVersionE0EDF16_DF16_EELb1ELi2EEEvNT_8ArgumentE.num_named_barrier, 0
	.set _ZN2ck27kernel_gemm_xdl_cshuffle_v2INS_28GridwiseGemm_xdl_cshuffle_v2INS_13tensor_layout4gemm8RowMajorES4_S4_DF16_DF16_fDF16_DF16_NS_16tensor_operation12element_wise11PassThroughES7_S7_LNS5_6device18GemmSpecializationE0ELNS_25InMemoryDataOperationEnumE0ELi2ELi256ELi256ELi256ELi32ELi8ELi4ELi16ELi16ELi8ELi4ENS_8SequenceIJLi4ELi64ELi1EEEENSB_IJLi1ELi0ELi2EEEESD_Li2ELi8ELi8ELb0ELi0ENSB_IJLi8ELi32ELi1EEEENSB_IJLi0ELi2ELi1EEEESF_Li1ELi8ELi4ELb0ELi0ELi1ELi1ENSB_IJLi1ELi32ELi1ELi8EEEELi4ELNS_13LoopSchedulerE0ELNS_15PipelineVersionE0EDF16_DF16_EELb1ELi2EEEvNT_8ArgumentE.private_seg_size, 0
	.set _ZN2ck27kernel_gemm_xdl_cshuffle_v2INS_28GridwiseGemm_xdl_cshuffle_v2INS_13tensor_layout4gemm8RowMajorES4_S4_DF16_DF16_fDF16_DF16_NS_16tensor_operation12element_wise11PassThroughES7_S7_LNS5_6device18GemmSpecializationE0ELNS_25InMemoryDataOperationEnumE0ELi2ELi256ELi256ELi256ELi32ELi8ELi4ELi16ELi16ELi8ELi4ENS_8SequenceIJLi4ELi64ELi1EEEENSB_IJLi1ELi0ELi2EEEESD_Li2ELi8ELi8ELb0ELi0ENSB_IJLi8ELi32ELi1EEEENSB_IJLi0ELi2ELi1EEEESF_Li1ELi8ELi4ELb0ELi0ELi1ELi1ENSB_IJLi1ELi32ELi1ELi8EEEELi4ELNS_13LoopSchedulerE0ELNS_15PipelineVersionE0EDF16_DF16_EELb1ELi2EEEvNT_8ArgumentE.uses_vcc, 0
	.set _ZN2ck27kernel_gemm_xdl_cshuffle_v2INS_28GridwiseGemm_xdl_cshuffle_v2INS_13tensor_layout4gemm8RowMajorES4_S4_DF16_DF16_fDF16_DF16_NS_16tensor_operation12element_wise11PassThroughES7_S7_LNS5_6device18GemmSpecializationE0ELNS_25InMemoryDataOperationEnumE0ELi2ELi256ELi256ELi256ELi32ELi8ELi4ELi16ELi16ELi8ELi4ENS_8SequenceIJLi4ELi64ELi1EEEENSB_IJLi1ELi0ELi2EEEESD_Li2ELi8ELi8ELb0ELi0ENSB_IJLi8ELi32ELi1EEEENSB_IJLi0ELi2ELi1EEEESF_Li1ELi8ELi4ELb0ELi0ELi1ELi1ENSB_IJLi1ELi32ELi1ELi8EEEELi4ELNS_13LoopSchedulerE0ELNS_15PipelineVersionE0EDF16_DF16_EELb1ELi2EEEvNT_8ArgumentE.uses_flat_scratch, 0
	.set _ZN2ck27kernel_gemm_xdl_cshuffle_v2INS_28GridwiseGemm_xdl_cshuffle_v2INS_13tensor_layout4gemm8RowMajorES4_S4_DF16_DF16_fDF16_DF16_NS_16tensor_operation12element_wise11PassThroughES7_S7_LNS5_6device18GemmSpecializationE0ELNS_25InMemoryDataOperationEnumE0ELi2ELi256ELi256ELi256ELi32ELi8ELi4ELi16ELi16ELi8ELi4ENS_8SequenceIJLi4ELi64ELi1EEEENSB_IJLi1ELi0ELi2EEEESD_Li2ELi8ELi8ELb0ELi0ENSB_IJLi8ELi32ELi1EEEENSB_IJLi0ELi2ELi1EEEESF_Li1ELi8ELi4ELb0ELi0ELi1ELi1ENSB_IJLi1ELi32ELi1ELi8EEEELi4ELNS_13LoopSchedulerE0ELNS_15PipelineVersionE0EDF16_DF16_EELb1ELi2EEEvNT_8ArgumentE.has_dyn_sized_stack, 0
	.set _ZN2ck27kernel_gemm_xdl_cshuffle_v2INS_28GridwiseGemm_xdl_cshuffle_v2INS_13tensor_layout4gemm8RowMajorES4_S4_DF16_DF16_fDF16_DF16_NS_16tensor_operation12element_wise11PassThroughES7_S7_LNS5_6device18GemmSpecializationE0ELNS_25InMemoryDataOperationEnumE0ELi2ELi256ELi256ELi256ELi32ELi8ELi4ELi16ELi16ELi8ELi4ENS_8SequenceIJLi4ELi64ELi1EEEENSB_IJLi1ELi0ELi2EEEESD_Li2ELi8ELi8ELb0ELi0ENSB_IJLi8ELi32ELi1EEEENSB_IJLi0ELi2ELi1EEEESF_Li1ELi8ELi4ELb0ELi0ELi1ELi1ENSB_IJLi1ELi32ELi1ELi8EEEELi4ELNS_13LoopSchedulerE0ELNS_15PipelineVersionE0EDF16_DF16_EELb1ELi2EEEvNT_8ArgumentE.has_recursion, 0
	.set _ZN2ck27kernel_gemm_xdl_cshuffle_v2INS_28GridwiseGemm_xdl_cshuffle_v2INS_13tensor_layout4gemm8RowMajorES4_S4_DF16_DF16_fDF16_DF16_NS_16tensor_operation12element_wise11PassThroughES7_S7_LNS5_6device18GemmSpecializationE0ELNS_25InMemoryDataOperationEnumE0ELi2ELi256ELi256ELi256ELi32ELi8ELi4ELi16ELi16ELi8ELi4ENS_8SequenceIJLi4ELi64ELi1EEEENSB_IJLi1ELi0ELi2EEEESD_Li2ELi8ELi8ELb0ELi0ENSB_IJLi8ELi32ELi1EEEENSB_IJLi0ELi2ELi1EEEESF_Li1ELi8ELi4ELb0ELi0ELi1ELi1ENSB_IJLi1ELi32ELi1ELi8EEEELi4ELNS_13LoopSchedulerE0ELNS_15PipelineVersionE0EDF16_DF16_EELb1ELi2EEEvNT_8ArgumentE.has_indirect_call, 0
	.section	.AMDGPU.csdata,"",@progbits
; Kernel info:
; codeLenInByte = 4
; TotalNumSgprs: 6
; NumVgprs: 0
; NumAgprs: 0
; TotalNumVgprs: 0
; ScratchSize: 0
; MemoryBound: 0
; FloatMode: 240
; IeeeMode: 1
; LDSByteSize: 0 bytes/workgroup (compile time only)
; SGPRBlocks: 0
; VGPRBlocks: 0
; NumSGPRsForWavesPerEU: 6
; NumVGPRsForWavesPerEU: 1
; AccumOffset: 4
; Occupancy: 8
; WaveLimiterHint : 0
; COMPUTE_PGM_RSRC2:SCRATCH_EN: 0
; COMPUTE_PGM_RSRC2:USER_SGPR: 2
; COMPUTE_PGM_RSRC2:TRAP_HANDLER: 0
; COMPUTE_PGM_RSRC2:TGID_X_EN: 1
; COMPUTE_PGM_RSRC2:TGID_Y_EN: 0
; COMPUTE_PGM_RSRC2:TGID_Z_EN: 0
; COMPUTE_PGM_RSRC2:TIDIG_COMP_CNT: 0
; COMPUTE_PGM_RSRC3_GFX90A:ACCUM_OFFSET: 0
; COMPUTE_PGM_RSRC3_GFX90A:TG_SPLIT: 0
	.section	.text._ZN2ck17naive_gemm_kernelINS_13tensor_layout4gemm8RowMajorES3_S3_DF16_DF16_DF16_fNS_16tensor_operation12element_wise11PassThroughES6_S6_DF16_DF16_EEvPKT2_PKT3_PT4_iiiT6_T7_T8_,"axG",@progbits,_ZN2ck17naive_gemm_kernelINS_13tensor_layout4gemm8RowMajorES3_S3_DF16_DF16_DF16_fNS_16tensor_operation12element_wise11PassThroughES6_S6_DF16_DF16_EEvPKT2_PKT3_PT4_iiiT6_T7_T8_,comdat
	.protected	_ZN2ck17naive_gemm_kernelINS_13tensor_layout4gemm8RowMajorES3_S3_DF16_DF16_DF16_fNS_16tensor_operation12element_wise11PassThroughES6_S6_DF16_DF16_EEvPKT2_PKT3_PT4_iiiT6_T7_T8_ ; -- Begin function _ZN2ck17naive_gemm_kernelINS_13tensor_layout4gemm8RowMajorES3_S3_DF16_DF16_DF16_fNS_16tensor_operation12element_wise11PassThroughES6_S6_DF16_DF16_EEvPKT2_PKT3_PT4_iiiT6_T7_T8_
	.globl	_ZN2ck17naive_gemm_kernelINS_13tensor_layout4gemm8RowMajorES3_S3_DF16_DF16_DF16_fNS_16tensor_operation12element_wise11PassThroughES6_S6_DF16_DF16_EEvPKT2_PKT3_PT4_iiiT6_T7_T8_
	.p2align	8
	.type	_ZN2ck17naive_gemm_kernelINS_13tensor_layout4gemm8RowMajorES3_S3_DF16_DF16_DF16_fNS_16tensor_operation12element_wise11PassThroughES6_S6_DF16_DF16_EEvPKT2_PKT3_PT4_iiiT6_T7_T8_,@function
_ZN2ck17naive_gemm_kernelINS_13tensor_layout4gemm8RowMajorES3_S3_DF16_DF16_DF16_fNS_16tensor_operation12element_wise11PassThroughES6_S6_DF16_DF16_EEvPKT2_PKT3_PT4_iiiT6_T7_T8_: ; @_ZN2ck17naive_gemm_kernelINS_13tensor_layout4gemm8RowMajorES3_S3_DF16_DF16_DF16_fNS_16tensor_operation12element_wise11PassThroughES6_S6_DF16_DF16_EEvPKT2_PKT3_PT4_iiiT6_T7_T8_
; %bb.0:
	s_load_dword s8, s[0:1], 0x34
	s_load_dwordx4 s[4:7], s[0:1], 0x18
	v_and_b32_e32 v1, 0x3ff, v0
	v_bfe_u32 v0, v0, 10, 10
	s_waitcnt lgkmcnt(0)
	s_lshr_b32 s7, s8, 16
	s_and_b32 s8, s8, 0xffff
	s_mul_i32 s2, s2, s8
	s_mul_i32 s3, s3, s7
	v_add_u32_e32 v1, s2, v1
	v_add_u32_e32 v0, s3, v0
	v_cmp_gt_i32_e32 vcc, s4, v1
	v_cmp_gt_i32_e64 s[2:3], s5, v0
	s_and_b64 s[2:3], vcc, s[2:3]
	s_and_saveexec_b64 s[8:9], s[2:3]
	s_cbranch_execz .LBB5_7
; %bb.1:
	s_load_dwordx2 s[8:9], s[0:1], 0x10
	s_cmp_lt_i32 s6, 1
	s_cbranch_scc1 .LBB5_5
; %bb.2:
	s_load_dwordx4 s[0:3], s[0:1], 0x0
	v_mul_lo_u32 v2, v1, s6
	v_ashrrev_i32_e32 v3, 31, v2
	v_mov_b32_e32 v6, 0
	v_mov_b32_e32 v4, v0
	s_waitcnt lgkmcnt(0)
	v_lshl_add_u64 v[2:3], v[2:3], 1, s[0:1]
.LBB5_3:                                ; =>This Inner Loop Header: Depth=1
	v_ashrrev_i32_e32 v5, 31, v4
	v_lshl_add_u64 v[8:9], v[4:5], 1, s[2:3]
	global_load_ushort v7, v[2:3], off
	global_load_ushort v5, v[8:9], off
	s_add_i32 s6, s6, -1
	v_lshl_add_u64 v[2:3], v[2:3], 0, 2
	v_add_u32_e32 v4, s5, v4
	s_cmp_eq_u32 s6, 0
	s_waitcnt vmcnt(0)
	v_fma_mix_f32 v6, v7, v5, v6 op_sel_hi:[1,1,0]
	s_cbranch_scc0 .LBB5_3
; %bb.4:
	v_cvt_f16_f32_e32 v2, v6
	s_branch .LBB5_6
.LBB5_5:
	v_mov_b32_e32 v2, 0
.LBB5_6:
	v_mad_u64_u32 v[0:1], s[0:1], v1, s5, v[0:1]
	v_ashrrev_i32_e32 v1, 31, v0
	s_waitcnt lgkmcnt(0)
	v_lshl_add_u64 v[0:1], v[0:1], 1, s[8:9]
	global_store_short v[0:1], v2, off
.LBB5_7:
	s_endpgm
	.section	.rodata,"a",@progbits
	.p2align	6, 0x0
	.amdhsa_kernel _ZN2ck17naive_gemm_kernelINS_13tensor_layout4gemm8RowMajorES3_S3_DF16_DF16_DF16_fNS_16tensor_operation12element_wise11PassThroughES6_S6_DF16_DF16_EEvPKT2_PKT3_PT4_iiiT6_T7_T8_
		.amdhsa_group_segment_fixed_size 0
		.amdhsa_private_segment_fixed_size 0
		.amdhsa_kernarg_size 296
		.amdhsa_user_sgpr_count 2
		.amdhsa_user_sgpr_dispatch_ptr 0
		.amdhsa_user_sgpr_queue_ptr 0
		.amdhsa_user_sgpr_kernarg_segment_ptr 1
		.amdhsa_user_sgpr_dispatch_id 0
		.amdhsa_user_sgpr_kernarg_preload_length 0
		.amdhsa_user_sgpr_kernarg_preload_offset 0
		.amdhsa_user_sgpr_private_segment_size 0
		.amdhsa_uses_dynamic_stack 0
		.amdhsa_enable_private_segment 0
		.amdhsa_system_sgpr_workgroup_id_x 1
		.amdhsa_system_sgpr_workgroup_id_y 1
		.amdhsa_system_sgpr_workgroup_id_z 0
		.amdhsa_system_sgpr_workgroup_info 0
		.amdhsa_system_vgpr_workitem_id 1
		.amdhsa_next_free_vgpr 10
		.amdhsa_next_free_sgpr 10
		.amdhsa_accum_offset 12
		.amdhsa_reserve_vcc 1
		.amdhsa_float_round_mode_32 0
		.amdhsa_float_round_mode_16_64 0
		.amdhsa_float_denorm_mode_32 3
		.amdhsa_float_denorm_mode_16_64 3
		.amdhsa_dx10_clamp 1
		.amdhsa_ieee_mode 1
		.amdhsa_fp16_overflow 0
		.amdhsa_tg_split 0
		.amdhsa_exception_fp_ieee_invalid_op 0
		.amdhsa_exception_fp_denorm_src 0
		.amdhsa_exception_fp_ieee_div_zero 0
		.amdhsa_exception_fp_ieee_overflow 0
		.amdhsa_exception_fp_ieee_underflow 0
		.amdhsa_exception_fp_ieee_inexact 0
		.amdhsa_exception_int_div_zero 0
	.end_amdhsa_kernel
	.section	.text._ZN2ck17naive_gemm_kernelINS_13tensor_layout4gemm8RowMajorES3_S3_DF16_DF16_DF16_fNS_16tensor_operation12element_wise11PassThroughES6_S6_DF16_DF16_EEvPKT2_PKT3_PT4_iiiT6_T7_T8_,"axG",@progbits,_ZN2ck17naive_gemm_kernelINS_13tensor_layout4gemm8RowMajorES3_S3_DF16_DF16_DF16_fNS_16tensor_operation12element_wise11PassThroughES6_S6_DF16_DF16_EEvPKT2_PKT3_PT4_iiiT6_T7_T8_,comdat
.Lfunc_end5:
	.size	_ZN2ck17naive_gemm_kernelINS_13tensor_layout4gemm8RowMajorES3_S3_DF16_DF16_DF16_fNS_16tensor_operation12element_wise11PassThroughES6_S6_DF16_DF16_EEvPKT2_PKT3_PT4_iiiT6_T7_T8_, .Lfunc_end5-_ZN2ck17naive_gemm_kernelINS_13tensor_layout4gemm8RowMajorES3_S3_DF16_DF16_DF16_fNS_16tensor_operation12element_wise11PassThroughES6_S6_DF16_DF16_EEvPKT2_PKT3_PT4_iiiT6_T7_T8_
                                        ; -- End function
	.set _ZN2ck17naive_gemm_kernelINS_13tensor_layout4gemm8RowMajorES3_S3_DF16_DF16_DF16_fNS_16tensor_operation12element_wise11PassThroughES6_S6_DF16_DF16_EEvPKT2_PKT3_PT4_iiiT6_T7_T8_.num_vgpr, 10
	.set _ZN2ck17naive_gemm_kernelINS_13tensor_layout4gemm8RowMajorES3_S3_DF16_DF16_DF16_fNS_16tensor_operation12element_wise11PassThroughES6_S6_DF16_DF16_EEvPKT2_PKT3_PT4_iiiT6_T7_T8_.num_agpr, 0
	.set _ZN2ck17naive_gemm_kernelINS_13tensor_layout4gemm8RowMajorES3_S3_DF16_DF16_DF16_fNS_16tensor_operation12element_wise11PassThroughES6_S6_DF16_DF16_EEvPKT2_PKT3_PT4_iiiT6_T7_T8_.numbered_sgpr, 10
	.set _ZN2ck17naive_gemm_kernelINS_13tensor_layout4gemm8RowMajorES3_S3_DF16_DF16_DF16_fNS_16tensor_operation12element_wise11PassThroughES6_S6_DF16_DF16_EEvPKT2_PKT3_PT4_iiiT6_T7_T8_.num_named_barrier, 0
	.set _ZN2ck17naive_gemm_kernelINS_13tensor_layout4gemm8RowMajorES3_S3_DF16_DF16_DF16_fNS_16tensor_operation12element_wise11PassThroughES6_S6_DF16_DF16_EEvPKT2_PKT3_PT4_iiiT6_T7_T8_.private_seg_size, 0
	.set _ZN2ck17naive_gemm_kernelINS_13tensor_layout4gemm8RowMajorES3_S3_DF16_DF16_DF16_fNS_16tensor_operation12element_wise11PassThroughES6_S6_DF16_DF16_EEvPKT2_PKT3_PT4_iiiT6_T7_T8_.uses_vcc, 1
	.set _ZN2ck17naive_gemm_kernelINS_13tensor_layout4gemm8RowMajorES3_S3_DF16_DF16_DF16_fNS_16tensor_operation12element_wise11PassThroughES6_S6_DF16_DF16_EEvPKT2_PKT3_PT4_iiiT6_T7_T8_.uses_flat_scratch, 0
	.set _ZN2ck17naive_gemm_kernelINS_13tensor_layout4gemm8RowMajorES3_S3_DF16_DF16_DF16_fNS_16tensor_operation12element_wise11PassThroughES6_S6_DF16_DF16_EEvPKT2_PKT3_PT4_iiiT6_T7_T8_.has_dyn_sized_stack, 0
	.set _ZN2ck17naive_gemm_kernelINS_13tensor_layout4gemm8RowMajorES3_S3_DF16_DF16_DF16_fNS_16tensor_operation12element_wise11PassThroughES6_S6_DF16_DF16_EEvPKT2_PKT3_PT4_iiiT6_T7_T8_.has_recursion, 0
	.set _ZN2ck17naive_gemm_kernelINS_13tensor_layout4gemm8RowMajorES3_S3_DF16_DF16_DF16_fNS_16tensor_operation12element_wise11PassThroughES6_S6_DF16_DF16_EEvPKT2_PKT3_PT4_iiiT6_T7_T8_.has_indirect_call, 0
	.section	.AMDGPU.csdata,"",@progbits
; Kernel info:
; codeLenInByte = 256
; TotalNumSgprs: 16
; NumVgprs: 10
; NumAgprs: 0
; TotalNumVgprs: 10
; ScratchSize: 0
; MemoryBound: 0
; FloatMode: 240
; IeeeMode: 1
; LDSByteSize: 0 bytes/workgroup (compile time only)
; SGPRBlocks: 1
; VGPRBlocks: 1
; NumSGPRsForWavesPerEU: 16
; NumVGPRsForWavesPerEU: 10
; AccumOffset: 12
; Occupancy: 8
; WaveLimiterHint : 0
; COMPUTE_PGM_RSRC2:SCRATCH_EN: 0
; COMPUTE_PGM_RSRC2:USER_SGPR: 2
; COMPUTE_PGM_RSRC2:TRAP_HANDLER: 0
; COMPUTE_PGM_RSRC2:TGID_X_EN: 1
; COMPUTE_PGM_RSRC2:TGID_Y_EN: 1
; COMPUTE_PGM_RSRC2:TGID_Z_EN: 0
; COMPUTE_PGM_RSRC2:TIDIG_COMP_CNT: 1
; COMPUTE_PGM_RSRC3_GFX90A:ACCUM_OFFSET: 2
; COMPUTE_PGM_RSRC3_GFX90A:TG_SPLIT: 0
	.section	.AMDGPU.gpr_maximums,"",@progbits
	.set amdgpu.max_num_vgpr, 0
	.set amdgpu.max_num_agpr, 0
	.set amdgpu.max_num_sgpr, 0
	.section	.AMDGPU.csdata,"",@progbits
	.type	__hip_cuid_54a368881ef459db,@object ; @__hip_cuid_54a368881ef459db
	.section	.bss,"aw",@nobits
	.globl	__hip_cuid_54a368881ef459db
__hip_cuid_54a368881ef459db:
	.byte	0                               ; 0x0
	.size	__hip_cuid_54a368881ef459db, 1

	.ident	"AMD clang version 22.0.0git (https://github.com/RadeonOpenCompute/llvm-project roc-7.2.4 26084 f58b06dce1f9c15707c5f808fd002e18c2accf7e)"
	.section	".note.GNU-stack","",@progbits
	.addrsig
	.addrsig_sym __hip_cuid_54a368881ef459db
	.amdgpu_metadata
---
amdhsa.kernels:
  - .agpr_count:     0
    .args:           []
    .group_segment_fixed_size: 0
    .kernarg_segment_align: 4
    .kernarg_segment_size: 0
    .language:       OpenCL C
    .language_version:
      - 2
      - 0
    .max_flat_workgroup_size: 1024
    .name:           _ZN2ckL12flush_icacheEv
    .private_segment_fixed_size: 0
    .sgpr_count:     6
    .sgpr_spill_count: 0
    .symbol:         _ZN2ckL12flush_icacheEv.kd
    .uniform_work_group_size: 1
    .uses_dynamic_stack: false
    .vgpr_count:     0
    .vgpr_spill_count: 0
    .wavefront_size: 64
  - .agpr_count:     256
    .args:
      - .offset:         0
        .size:           96
        .value_kind:     by_value
    .group_segment_fixed_size: 65536
    .kernarg_segment_align: 8
    .kernarg_segment_size: 96
    .language:       OpenCL C
    .language_version:
      - 2
      - 0
    .max_flat_workgroup_size: 256
    .name:           _ZN2ck27kernel_gemm_xdl_cshuffle_v2INS_28GridwiseGemm_xdl_cshuffle_v2INS_13tensor_layout4gemm8RowMajorES4_S4_DF16_DF16_fDF16_DF16_NS_16tensor_operation12element_wise11PassThroughES7_S7_LNS5_6device18GemmSpecializationE0ELNS_25InMemoryDataOperationEnumE0ELi2ELi256ELi256ELi256ELi32ELi8ELi4ELi16ELi16ELi8ELi8ENS_8SequenceIJLi4ELi64ELi1EEEENSB_IJLi1ELi0ELi2EEEESD_Li2ELi8ELi8ELb0ELi0ENSB_IJLi8ELi32ELi1EEEENSB_IJLi0ELi2ELi1EEEESF_Li1ELi8ELi4ELb0ELi0ELi1ELi1ENSB_IJLi1ELi32ELi1ELi8EEEELi4ELNS_13LoopSchedulerE0ELNS_15PipelineVersionE0EDF16_DF16_EELb1ELi3EEEvNT_8ArgumentE
    .private_segment_fixed_size: 148
    .sgpr_count:     37
    .sgpr_spill_count: 0
    .symbol:         _ZN2ck27kernel_gemm_xdl_cshuffle_v2INS_28GridwiseGemm_xdl_cshuffle_v2INS_13tensor_layout4gemm8RowMajorES4_S4_DF16_DF16_fDF16_DF16_NS_16tensor_operation12element_wise11PassThroughES7_S7_LNS5_6device18GemmSpecializationE0ELNS_25InMemoryDataOperationEnumE0ELi2ELi256ELi256ELi256ELi32ELi8ELi4ELi16ELi16ELi8ELi8ENS_8SequenceIJLi4ELi64ELi1EEEENSB_IJLi1ELi0ELi2EEEESD_Li2ELi8ELi8ELb0ELi0ENSB_IJLi8ELi32ELi1EEEENSB_IJLi0ELi2ELi1EEEESF_Li1ELi8ELi4ELb0ELi0ELi1ELi1ENSB_IJLi1ELi32ELi1ELi8EEEELi4ELNS_13LoopSchedulerE0ELNS_15PipelineVersionE0EDF16_DF16_EELb1ELi3EEEvNT_8ArgumentE.kd
    .uniform_work_group_size: 1
    .uses_dynamic_stack: false
    .vgpr_count:     512
    .vgpr_spill_count: 44
    .wavefront_size: 64
  - .agpr_count:     256
    .args:
      - .offset:         0
        .size:           96
        .value_kind:     by_value
    .group_segment_fixed_size: 65536
    .kernarg_segment_align: 8
    .kernarg_segment_size: 96
    .language:       OpenCL C
    .language_version:
      - 2
      - 0
    .max_flat_workgroup_size: 256
    .name:           _ZN2ck27kernel_gemm_xdl_cshuffle_v2INS_28GridwiseGemm_xdl_cshuffle_v2INS_13tensor_layout4gemm8RowMajorES4_S4_DF16_DF16_fDF16_DF16_NS_16tensor_operation12element_wise11PassThroughES7_S7_LNS5_6device18GemmSpecializationE0ELNS_25InMemoryDataOperationEnumE0ELi2ELi256ELi256ELi256ELi32ELi8ELi4ELi16ELi16ELi8ELi8ENS_8SequenceIJLi4ELi64ELi1EEEENSB_IJLi1ELi0ELi2EEEESD_Li2ELi8ELi8ELb0ELi0ENSB_IJLi8ELi32ELi1EEEENSB_IJLi0ELi2ELi1EEEESF_Li1ELi8ELi4ELb0ELi0ELi1ELi1ENSB_IJLi1ELi32ELi1ELi8EEEELi4ELNS_13LoopSchedulerE0ELNS_15PipelineVersionE0EDF16_DF16_EELb1ELi2EEEvNT_8ArgumentE
    .private_segment_fixed_size: 0
    .sgpr_count:     37
    .sgpr_spill_count: 0
    .symbol:         _ZN2ck27kernel_gemm_xdl_cshuffle_v2INS_28GridwiseGemm_xdl_cshuffle_v2INS_13tensor_layout4gemm8RowMajorES4_S4_DF16_DF16_fDF16_DF16_NS_16tensor_operation12element_wise11PassThroughES7_S7_LNS5_6device18GemmSpecializationE0ELNS_25InMemoryDataOperationEnumE0ELi2ELi256ELi256ELi256ELi32ELi8ELi4ELi16ELi16ELi8ELi8ENS_8SequenceIJLi4ELi64ELi1EEEENSB_IJLi1ELi0ELi2EEEESD_Li2ELi8ELi8ELb0ELi0ENSB_IJLi8ELi32ELi1EEEENSB_IJLi0ELi2ELi1EEEESF_Li1ELi8ELi4ELb0ELi0ELi1ELi1ENSB_IJLi1ELi32ELi1ELi8EEEELi4ELNS_13LoopSchedulerE0ELNS_15PipelineVersionE0EDF16_DF16_EELb1ELi2EEEvNT_8ArgumentE.kd
    .uniform_work_group_size: 1
    .uses_dynamic_stack: false
    .vgpr_count:     480
    .vgpr_spill_count: 0
    .wavefront_size: 64
  - .agpr_count:     0
    .args:
      - .offset:         0
        .size:           96
        .value_kind:     by_value
    .group_segment_fixed_size: 0
    .kernarg_segment_align: 8
    .kernarg_segment_size: 96
    .language:       OpenCL C
    .language_version:
      - 2
      - 0
    .max_flat_workgroup_size: 256
    .name:           _ZN2ck27kernel_gemm_xdl_cshuffle_v2INS_28GridwiseGemm_xdl_cshuffle_v2INS_13tensor_layout4gemm8RowMajorES4_S4_DF16_DF16_fDF16_DF16_NS_16tensor_operation12element_wise11PassThroughES7_S7_LNS5_6device18GemmSpecializationE0ELNS_25InMemoryDataOperationEnumE0ELi2ELi256ELi256ELi256ELi32ELi8ELi4ELi16ELi16ELi8ELi4ENS_8SequenceIJLi4ELi64ELi1EEEENSB_IJLi1ELi0ELi2EEEESD_Li2ELi8ELi8ELb0ELi0ENSB_IJLi8ELi32ELi1EEEENSB_IJLi0ELi2ELi1EEEESF_Li1ELi8ELi4ELb0ELi0ELi1ELi1ENSB_IJLi1ELi32ELi1ELi8EEEELi4ELNS_13LoopSchedulerE0ELNS_15PipelineVersionE0EDF16_DF16_EELb1ELi3EEEvNT_8ArgumentE
    .private_segment_fixed_size: 0
    .sgpr_count:     6
    .sgpr_spill_count: 0
    .symbol:         _ZN2ck27kernel_gemm_xdl_cshuffle_v2INS_28GridwiseGemm_xdl_cshuffle_v2INS_13tensor_layout4gemm8RowMajorES4_S4_DF16_DF16_fDF16_DF16_NS_16tensor_operation12element_wise11PassThroughES7_S7_LNS5_6device18GemmSpecializationE0ELNS_25InMemoryDataOperationEnumE0ELi2ELi256ELi256ELi256ELi32ELi8ELi4ELi16ELi16ELi8ELi4ENS_8SequenceIJLi4ELi64ELi1EEEENSB_IJLi1ELi0ELi2EEEESD_Li2ELi8ELi8ELb0ELi0ENSB_IJLi8ELi32ELi1EEEENSB_IJLi0ELi2ELi1EEEESF_Li1ELi8ELi4ELb0ELi0ELi1ELi1ENSB_IJLi1ELi32ELi1ELi8EEEELi4ELNS_13LoopSchedulerE0ELNS_15PipelineVersionE0EDF16_DF16_EELb1ELi3EEEvNT_8ArgumentE.kd
    .uniform_work_group_size: 1
    .uses_dynamic_stack: false
    .vgpr_count:     0
    .vgpr_spill_count: 0
    .wavefront_size: 64
  - .agpr_count:     0
    .args:
      - .offset:         0
        .size:           96
        .value_kind:     by_value
    .group_segment_fixed_size: 0
    .kernarg_segment_align: 8
    .kernarg_segment_size: 96
    .language:       OpenCL C
    .language_version:
      - 2
      - 0
    .max_flat_workgroup_size: 256
    .name:           _ZN2ck27kernel_gemm_xdl_cshuffle_v2INS_28GridwiseGemm_xdl_cshuffle_v2INS_13tensor_layout4gemm8RowMajorES4_S4_DF16_DF16_fDF16_DF16_NS_16tensor_operation12element_wise11PassThroughES7_S7_LNS5_6device18GemmSpecializationE0ELNS_25InMemoryDataOperationEnumE0ELi2ELi256ELi256ELi256ELi32ELi8ELi4ELi16ELi16ELi8ELi4ENS_8SequenceIJLi4ELi64ELi1EEEENSB_IJLi1ELi0ELi2EEEESD_Li2ELi8ELi8ELb0ELi0ENSB_IJLi8ELi32ELi1EEEENSB_IJLi0ELi2ELi1EEEESF_Li1ELi8ELi4ELb0ELi0ELi1ELi1ENSB_IJLi1ELi32ELi1ELi8EEEELi4ELNS_13LoopSchedulerE0ELNS_15PipelineVersionE0EDF16_DF16_EELb1ELi2EEEvNT_8ArgumentE
    .private_segment_fixed_size: 0
    .sgpr_count:     6
    .sgpr_spill_count: 0
    .symbol:         _ZN2ck27kernel_gemm_xdl_cshuffle_v2INS_28GridwiseGemm_xdl_cshuffle_v2INS_13tensor_layout4gemm8RowMajorES4_S4_DF16_DF16_fDF16_DF16_NS_16tensor_operation12element_wise11PassThroughES7_S7_LNS5_6device18GemmSpecializationE0ELNS_25InMemoryDataOperationEnumE0ELi2ELi256ELi256ELi256ELi32ELi8ELi4ELi16ELi16ELi8ELi4ENS_8SequenceIJLi4ELi64ELi1EEEENSB_IJLi1ELi0ELi2EEEESD_Li2ELi8ELi8ELb0ELi0ENSB_IJLi8ELi32ELi1EEEENSB_IJLi0ELi2ELi1EEEESF_Li1ELi8ELi4ELb0ELi0ELi1ELi1ENSB_IJLi1ELi32ELi1ELi8EEEELi4ELNS_13LoopSchedulerE0ELNS_15PipelineVersionE0EDF16_DF16_EELb1ELi2EEEvNT_8ArgumentE.kd
    .uniform_work_group_size: 1
    .uses_dynamic_stack: false
    .vgpr_count:     0
    .vgpr_spill_count: 0
    .wavefront_size: 64
  - .agpr_count:     0
    .args:
      - .actual_access:  read_only
        .address_space:  global
        .offset:         0
        .size:           8
        .value_kind:     global_buffer
      - .actual_access:  read_only
        .address_space:  global
        .offset:         8
        .size:           8
        .value_kind:     global_buffer
      - .actual_access:  write_only
        .address_space:  global
        .offset:         16
        .size:           8
        .value_kind:     global_buffer
      - .offset:         24
        .size:           4
        .value_kind:     by_value
      - .offset:         28
        .size:           4
        .value_kind:     by_value
      - .offset:         32
        .size:           4
        .value_kind:     by_value
      - .offset:         36
        .size:           1
        .value_kind:     by_value
      - .offset:         37
        .size:           1
        .value_kind:     by_value
      - .offset:         38
        .size:           1
        .value_kind:     by_value
      - .offset:         40
        .size:           4
        .value_kind:     hidden_block_count_x
      - .offset:         44
        .size:           4
        .value_kind:     hidden_block_count_y
      - .offset:         48
        .size:           4
        .value_kind:     hidden_block_count_z
      - .offset:         52
        .size:           2
        .value_kind:     hidden_group_size_x
      - .offset:         54
        .size:           2
        .value_kind:     hidden_group_size_y
      - .offset:         56
        .size:           2
        .value_kind:     hidden_group_size_z
      - .offset:         58
        .size:           2
        .value_kind:     hidden_remainder_x
      - .offset:         60
        .size:           2
        .value_kind:     hidden_remainder_y
      - .offset:         62
        .size:           2
        .value_kind:     hidden_remainder_z
      - .offset:         80
        .size:           8
        .value_kind:     hidden_global_offset_x
      - .offset:         88
        .size:           8
        .value_kind:     hidden_global_offset_y
      - .offset:         96
        .size:           8
        .value_kind:     hidden_global_offset_z
      - .offset:         104
        .size:           2
        .value_kind:     hidden_grid_dims
    .group_segment_fixed_size: 0
    .kernarg_segment_align: 8
    .kernarg_segment_size: 296
    .language:       OpenCL C
    .language_version:
      - 2
      - 0
    .max_flat_workgroup_size: 256
    .name:           _ZN2ck17naive_gemm_kernelINS_13tensor_layout4gemm8RowMajorES3_S3_DF16_DF16_DF16_fNS_16tensor_operation12element_wise11PassThroughES6_S6_DF16_DF16_EEvPKT2_PKT3_PT4_iiiT6_T7_T8_
    .private_segment_fixed_size: 0
    .sgpr_count:     16
    .sgpr_spill_count: 0
    .symbol:         _ZN2ck17naive_gemm_kernelINS_13tensor_layout4gemm8RowMajorES3_S3_DF16_DF16_DF16_fNS_16tensor_operation12element_wise11PassThroughES6_S6_DF16_DF16_EEvPKT2_PKT3_PT4_iiiT6_T7_T8_.kd
    .uniform_work_group_size: 1
    .uses_dynamic_stack: false
    .vgpr_count:     10
    .vgpr_spill_count: 0
    .wavefront_size: 64
amdhsa.target:   amdgcn-amd-amdhsa--gfx950
amdhsa.version:
  - 1
  - 2
...

	.end_amdgpu_metadata
